;; amdgpu-corpus repo=ROCm/rocFFT kind=compiled arch=gfx1201 opt=O3
	.text
	.amdgcn_target "amdgcn-amd-amdhsa--gfx1201"
	.amdhsa_code_object_version 6
	.protected	bluestein_single_back_len10240_dim1_half_op_CI_CI ; -- Begin function bluestein_single_back_len10240_dim1_half_op_CI_CI
	.globl	bluestein_single_back_len10240_dim1_half_op_CI_CI
	.p2align	8
	.type	bluestein_single_back_len10240_dim1_half_op_CI_CI,@function
bluestein_single_back_len10240_dim1_half_op_CI_CI: ; @bluestein_single_back_len10240_dim1_half_op_CI_CI
; %bb.0:
	s_load_b128 s[12:15], s[0:1], 0x28
	s_mov_b32 s2, ttmp9
	s_mov_b32 s3, 0
	s_mov_b32 s5, exec_lo
	s_wait_kmcnt 0x0
	v_cmpx_lt_u64_e64 s[2:3], s[12:13]
	s_cbranch_execz .LBB0_15
; %bb.1:
	s_load_b128 s[4:7], s[0:1], 0x18
	v_dual_mov_b32 v33, s3 :: v_dual_mov_b32 v32, s2
	s_wait_kmcnt 0x0
	s_load_b128 s[8:11], s[4:5], 0x0
	s_load_b64 s[12:13], s[0:1], 0x0
	s_wait_kmcnt 0x0
	v_mad_co_u64_u32 v[1:2], null, s10, v32, 0
	v_mad_co_u64_u32 v[3:4], null, s8, v0, 0
	s_mul_u64 s[2:3], s[8:9], 0x500
	s_delay_alu instid0(VALU_DEP_1)
	v_mad_co_u64_u32 v[5:6], null, s11, v32, v[2:3]
	v_lshlrev_b32_e32 v57, 2, v0
	s_wait_alu 0xfffe
	s_lshl_b64 s[10:11], s[2:3], 2
	s_movk_i32 s2, 0xdf00
	s_mov_b32 s3, -1
	s_wait_alu 0xfffe
	s_mul_u64 s[2:3], s[8:9], s[2:3]
	v_mov_b32_e32 v2, v5
	v_mad_co_u64_u32 v[6:7], null, s9, v0, v[4:5]
	s_clause 0x3
	global_load_b32 v85, v57, s[12:13]
	global_load_b32 v79, v57, s[12:13] offset:20480
	global_load_b32 v76, v57, s[12:13] offset:25600
	;; [unrolled: 1-line block ×3, first 2 shown]
	v_lshlrev_b64_e32 v[1:2], 2, v[1:2]
	s_clause 0x8
	global_load_b32 v82, v57, s[12:13] offset:15360
	global_load_b32 v67, v57, s[12:13] offset:12288
	;; [unrolled: 1-line block ×9, first 2 shown]
	v_mov_b32_e32 v4, v6
	s_clause 0x1
	global_load_b32 v77, v57, s[12:13] offset:30720
	global_load_b32 v62, v57, s[12:13] offset:27648
	v_add_co_u32 v1, vcc_lo, s14, v1
	v_add_co_ci_u32_e32 v2, vcc_lo, s15, v2, vcc_lo
	v_lshlrev_b64_e32 v[3:4], 2, v[3:4]
	s_wait_alu 0xfffe
	s_lshl_b64 s[2:3], s[2:3], 2
	global_load_b32 v64, v57, s[12:13] offset:22528
	s_load_b64 s[8:9], s[0:1], 0x38
	v_add_co_u32 v30, s14, s12, v57
	v_add_co_u32 v1, vcc_lo, v1, v3
	s_wait_alu 0xfffd
	v_add_co_ci_u32_e32 v2, vcc_lo, v2, v4, vcc_lo
	s_wait_alu 0xf1ff
	v_add_co_ci_u32_e64 v31, null, s13, 0, s14
	global_load_b32 v7, v[1:2], off
	v_add_co_u32 v1, vcc_lo, v1, s10
	s_wait_alu 0xfffd
	v_add_co_ci_u32_e32 v2, vcc_lo, s11, v2, vcc_lo
	s_delay_alu instid0(VALU_DEP_2) | instskip(SKIP_1) | instid1(VALU_DEP_2)
	v_add_co_u32 v3, vcc_lo, v1, s10
	s_wait_alu 0xfffd
	v_add_co_ci_u32_e32 v4, vcc_lo, s11, v2, vcc_lo
	s_clause 0x1
	global_load_b32 v8, v[1:2], off
	global_load_b32 v9, v[3:4], off
	v_add_co_u32 v1, vcc_lo, v3, s10
	s_wait_alu 0xfffd
	v_add_co_ci_u32_e32 v2, vcc_lo, s11, v4, vcc_lo
	s_delay_alu instid0(VALU_DEP_2) | instskip(SKIP_1) | instid1(VALU_DEP_2)
	v_add_co_u32 v3, vcc_lo, v1, s10
	s_wait_alu 0xfffd
	v_add_co_ci_u32_e32 v4, vcc_lo, s11, v2, vcc_lo
	s_clause 0x1
	global_load_b32 v10, v[1:2], off
	global_load_b32 v11, v[3:4], off
	v_add_co_u32 v1, vcc_lo, v3, s10
	s_wait_alu 0xfffd
	v_add_co_ci_u32_e32 v2, vcc_lo, s11, v4, vcc_lo
	s_delay_alu instid0(VALU_DEP_2) | instskip(SKIP_1) | instid1(VALU_DEP_2)
	v_add_co_u32 v3, vcc_lo, v1, s10
	s_wait_alu 0xfffd
	v_add_co_ci_u32_e32 v4, vcc_lo, s11, v2, vcc_lo
	global_load_b32 v12, v[1:2], off
	v_add_co_u32 v1, vcc_lo, v3, s10
	s_wait_alu 0xfffd
	v_add_co_ci_u32_e32 v2, vcc_lo, s11, v4, vcc_lo
	global_load_b32 v13, v[3:4], off
	;; [unrolled: 4-line block ×3, first 2 shown]
	global_load_b32 v15, v[3:4], off
	v_add_co_u32 v1, vcc_lo, v3, s10
	s_wait_alu 0xfffd
	v_add_co_ci_u32_e32 v2, vcc_lo, s11, v4, vcc_lo
	s_delay_alu instid0(VALU_DEP_2) | instskip(SKIP_1) | instid1(VALU_DEP_2)
	v_add_co_u32 v3, vcc_lo, v1, s10
	s_wait_alu 0xfffd
	v_add_co_ci_u32_e32 v4, vcc_lo, s11, v2, vcc_lo
	global_load_b32 v16, v[1:2], off
	v_add_co_u32 v1, vcc_lo, v3, s10
	s_wait_alu 0xfffd
	v_add_co_ci_u32_e32 v2, vcc_lo, s11, v4, vcc_lo
	global_load_b32 v17, v[3:4], off
	global_load_b32 v18, v[1:2], off
	v_add_co_u32 v1, vcc_lo, v1, s10
	s_wait_alu 0xfffd
	v_add_co_ci_u32_e32 v2, vcc_lo, s11, v2, vcc_lo
	s_delay_alu instid0(VALU_DEP_2) | instskip(SKIP_1) | instid1(VALU_DEP_2)
	v_add_co_u32 v3, vcc_lo, v1, s10
	s_wait_alu 0xfffd
	v_add_co_ci_u32_e32 v4, vcc_lo, s11, v2, vcc_lo
	global_load_b32 v19, v[1:2], off
	v_add_co_u32 v5, vcc_lo, v3, s10
	s_wait_alu 0xfffd
	v_add_co_ci_u32_e32 v6, vcc_lo, s11, v4, vcc_lo
	global_load_b32 v3, v[3:4], off
	;; [unrolled: 4-line block ×3, first 2 shown]
	global_load_b32 v20, v[1:2], off
	s_load_b128 s[4:7], s[6:7], 0x0
	v_or_b32_e32 v5, 0x400, v0
	v_mov_b32_e32 v6, 0
	s_delay_alu instid0(VALU_DEP_1)
	v_cmp_gt_u64_e32 vcc_lo, 0x500, v[5:6]
	s_wait_loadcnt 0x1f
	v_lshrrev_b32_e32 v89, 16, v85
	s_wait_loadcnt 0x1b
	v_lshrrev_b32_e32 v83, 16, v82
	v_lshrrev_b32_e32 v81, 16, v79
	s_wait_loadcnt 0x17
	v_lshrrev_b32_e32 v88, 16, v87
	v_lshrrev_b32_e32 v86, 16, v84
	;; [unrolled: 1-line block ×3, first 2 shown]
	s_wait_loadcnt 0x14
	v_lshrrev_b32_e32 v75, 16, v74
	s_wait_loadcnt 0x12
	v_lshrrev_b32_e32 v78, 16, v77
	v_lshrrev_b32_e32 v73, 16, v72
	;; [unrolled: 1-line block ×5, first 2 shown]
	s_wait_loadcnt 0x11
	v_lshrrev_b32_e32 v63, 16, v62
	v_lshrrev_b32_e32 v61, 16, v60
	;; [unrolled: 1-line block ×3, first 2 shown]
	s_wait_loadcnt 0x10
	v_lshrrev_b32_e32 v66, 16, v64
	s_wait_loadcnt 0xf
	v_lshrrev_b32_e32 v21, 16, v7
	v_mul_f16_e32 v22, v89, v7
	s_delay_alu instid0(VALU_DEP_2) | instskip(NEXT) | instid1(VALU_DEP_2)
	v_mul_f16_e32 v23, v89, v21
	v_fma_f16 v21, v85, v21, -v22
	s_wait_loadcnt 0xe
	v_lshrrev_b32_e32 v24, 16, v8
	v_mul_f16_e32 v25, v88, v8
	v_fmac_f16_e32 v23, v85, v7
	s_wait_loadcnt 0xd
	v_lshrrev_b32_e32 v22, 16, v9
	v_mul_f16_e32 v7, v88, v24
	v_fma_f16 v24, v87, v24, -v25
	v_mul_f16_e32 v25, v86, v9
	v_pack_b32_f16 v21, v23, v21
	s_delay_alu instid0(VALU_DEP_4) | instskip(SKIP_1) | instid1(VALU_DEP_4)
	v_fmac_f16_e32 v7, v87, v8
	v_mul_f16_e32 v8, v86, v22
	v_fma_f16 v22, v84, v22, -v25
	s_wait_loadcnt 0xc
	v_lshrrev_b32_e32 v23, 16, v10
	v_mul_f16_e32 v25, v83, v10
	v_pack_b32_f16 v7, v7, v24
	v_fmac_f16_e32 v8, v84, v9
	s_wait_loadcnt 0xb
	v_lshrrev_b32_e32 v24, 16, v11
	v_mul_f16_e32 v9, v83, v23
	v_fma_f16 v23, v82, v23, -v25
	v_mul_f16_e32 v25, v81, v11
	v_pack_b32_f16 v8, v8, v22
	s_delay_alu instid0(VALU_DEP_4) | instskip(SKIP_1) | instid1(VALU_DEP_4)
	v_fmac_f16_e32 v9, v82, v10
	v_mul_f16_e32 v10, v81, v24
	v_fma_f16 v24, v79, v24, -v25
	s_wait_loadcnt 0xa
	v_lshrrev_b32_e32 v22, 16, v12
	v_mul_f16_e32 v25, v80, v12
	v_pack_b32_f16 v9, v9, v23
	v_fmac_f16_e32 v10, v79, v11
	s_delay_alu instid0(VALU_DEP_4)
	v_mul_f16_e32 v11, v80, v22
	s_wait_loadcnt 0x9
	v_lshrrev_b32_e32 v23, 16, v13
	v_fma_f16 v22, v76, v22, -v25
	v_mul_f16_e32 v25, v78, v13
	v_pack_b32_f16 v10, v10, v24
	v_fmac_f16_e32 v11, v76, v12
	v_mul_f16_e32 v12, v78, v23
	s_wait_loadcnt 0x8
	v_lshrrev_b32_e32 v24, 16, v14
	v_fma_f16 v23, v77, v23, -v25
	v_mul_f16_e32 v25, v75, v14
	v_pack_b32_f16 v11, v11, v22
	v_fmac_f16_e32 v12, v77, v13
	;; [unrolled: 7-line block ×4, first 2 shown]
	v_mul_f16_e32 v15, v71, v23
	s_wait_loadcnt 0x5
	v_lshrrev_b32_e32 v24, 16, v17
	v_mul_f16_e32 v26, v69, v17
	v_fma_f16 v23, v70, v23, -v25
	v_pack_b32_f16 v14, v14, v22
	v_fmac_f16_e32 v15, v70, v16
	v_mul_f16_e32 v16, v69, v24
	v_fma_f16 v22, v67, v24, -v26
	s_wait_loadcnt 0x4
	v_lshrrev_b32_e32 v24, 16, v18
	ds_store_2addr_stride64_b32 v57, v21, v14 offset1:8
	v_pack_b32_f16 v14, v15, v23
	v_fmac_f16_e32 v16, v67, v17
	s_wait_loadcnt 0x3
	v_lshrrev_b32_e32 v21, 16, v19
	v_mul_f16_e32 v15, v68, v24
	v_mul_f16_e32 v23, v66, v19
	ds_store_2addr_stride64_b32 v57, v7, v14 offset0:20 offset1:28
	v_pack_b32_f16 v7, v16, v22
	v_mul_f16_e32 v14, v66, v21
	v_mul_f16_e32 v25, v68, v18
	v_fmac_f16_e32 v15, v65, v18
	s_wait_loadcnt 0x2
	v_lshrrev_b32_e32 v18, 16, v3
	v_fma_f16 v16, v64, v21, -v23
	v_mul_f16_e32 v21, v63, v3
	ds_store_2addr_stride64_b32 v57, v8, v7 offset0:40 offset1:48
	s_wait_loadcnt 0x1
	v_lshrrev_b32_e32 v7, 16, v4
	v_fmac_f16_e32 v14, v64, v19
	s_wait_loadcnt 0x0
	v_lshrrev_b32_e32 v19, 16, v20
	v_mul_f16_e32 v8, v63, v18
	v_fma_f16 v18, v62, v18, -v21
	v_mul_f16_e32 v21, v61, v4
	v_mul_f16_e32 v22, v61, v7
	v_fma_f16 v17, v65, v24, -v25
	v_mul_f16_e32 v23, v59, v20
	v_mul_f16_e32 v24, v59, v19
	v_fmac_f16_e32 v8, v62, v3
	v_fma_f16 v3, v60, v7, -v21
	v_fmac_f16_e32 v22, v60, v4
	v_fma_f16 v4, v58, v19, -v23
	v_fmac_f16_e32 v24, v58, v20
	v_pack_b32_f16 v7, v15, v17
	v_pack_b32_f16 v14, v14, v16
	;; [unrolled: 1-line block ×5, first 2 shown]
	ds_store_2addr_stride64_b32 v57, v9, v7 offset0:60 offset1:68
	ds_store_2addr_stride64_b32 v57, v10, v14 offset0:80 offset1:88
	;; [unrolled: 1-line block ×5, first 2 shown]
	s_and_saveexec_b32 s14, vcc_lo
	s_cbranch_execz .LBB0_3
; %bb.2:
	v_add_co_u32 v1, s2, v1, s2
	s_wait_alu 0xf1ff
	v_add_co_ci_u32_e64 v2, s2, s3, v2, s2
	s_delay_alu instid0(VALU_DEP_2) | instskip(SKIP_1) | instid1(VALU_DEP_2)
	v_add_co_u32 v3, s2, v1, s10
	s_wait_alu 0xf1ff
	v_add_co_ci_u32_e64 v4, s2, s11, v2, s2
	global_load_b32 v8, v[1:2], off
	global_load_b32 v9, v[3:4], off
	s_clause 0x6
	global_load_b32 v10, v[30:31], off offset:4096
	global_load_b32 v11, v[30:31], off offset:9216
	;; [unrolled: 1-line block ×7, first 2 shown]
	v_add_co_u32 v1, s2, v3, s10
	s_wait_alu 0xf1ff
	v_add_co_ci_u32_e64 v2, s2, s11, v4, s2
	global_load_b32 v17, v[30:31], off offset:39936
	v_add_co_u32 v3, s2, v1, s10
	s_wait_alu 0xf1ff
	v_add_co_ci_u32_e64 v4, s2, s11, v2, s2
	global_load_b32 v18, v[1:2], off
	v_add_co_u32 v1, s2, v3, s10
	s_wait_alu 0xf1ff
	v_add_co_ci_u32_e64 v2, s2, s11, v4, s2
	global_load_b32 v19, v[3:4], off
	;; [unrolled: 4-line block ×3, first 2 shown]
	v_add_co_u32 v1, s2, v3, s10
	s_wait_alu 0xf1ff
	v_add_co_ci_u32_e64 v2, s2, s11, v4, s2
	s_delay_alu instid0(VALU_DEP_2) | instskip(SKIP_1) | instid1(VALU_DEP_2)
	v_add_co_u32 v6, s2, v1, s10
	s_wait_alu 0xf1ff
	v_add_co_ci_u32_e64 v7, s2, s11, v2, s2
	global_load_b32 v3, v[3:4], off
	global_load_b32 v1, v[1:2], off
	;; [unrolled: 1-line block ×3, first 2 shown]
	s_wait_loadcnt 0xf
	v_lshrrev_b32_e32 v22, 16, v8
	s_wait_loadcnt 0xe
	v_lshrrev_b32_e32 v27, 16, v9
	;; [unrolled: 2-line block ×7, first 2 shown]
	v_mul_f16_e32 v25, v4, v8
	v_mul_f16_e32 v4, v4, v22
	s_wait_loadcnt 0x8
	v_lshrrev_b32_e32 v24, 16, v15
	s_wait_loadcnt 0x7
	v_lshrrev_b32_e32 v26, 16, v16
	v_fma_f16 v22, v10, v22, -v25
	v_fmac_f16_e32 v4, v10, v8
	v_mul_f16_e32 v25, v6, v9
	v_mul_f16_e32 v6, v6, v27
	s_wait_loadcnt 0x6
	v_lshrrev_b32_e32 v28, 16, v17
	s_wait_loadcnt 0x5
	v_lshrrev_b32_e32 v8, 16, v18
	v_mul_f16_e32 v10, v7, v18
	v_fma_f16 v25, v11, v27, -v25
	v_fmac_f16_e32 v6, v11, v9
	v_pack_b32_f16 v4, v4, v22
	v_mul_f16_e32 v7, v7, v8
	v_fma_f16 v8, v12, v8, -v10
	s_wait_loadcnt 0x4
	v_lshrrev_b32_e32 v9, 16, v19
	v_mul_f16_e32 v10, v21, v19
	v_pack_b32_f16 v6, v6, v25
	v_fmac_f16_e32 v7, v12, v18
	s_wait_loadcnt 0x3
	v_lshrrev_b32_e32 v11, 16, v20
	v_mul_f16_e32 v18, v23, v20
	v_mul_f16_e32 v12, v21, v9
	v_fma_f16 v9, v13, v9, -v10
	v_pack_b32_f16 v7, v7, v8
	v_mul_f16_e32 v8, v23, v11
	v_fma_f16 v10, v14, v11, -v18
	v_fmac_f16_e32 v12, v13, v19
	s_wait_loadcnt 0x2
	v_lshrrev_b32_e32 v11, 16, v3
	v_mul_f16_e32 v13, v24, v3
	v_fmac_f16_e32 v8, v14, v20
	s_wait_loadcnt 0x1
	v_lshrrev_b32_e32 v14, 16, v1
	s_wait_loadcnt 0x0
	v_lshrrev_b32_e32 v18, 16, v2
	v_mul_f16_e32 v19, v24, v11
	v_fma_f16 v11, v15, v11, -v13
	v_mul_f16_e32 v13, v26, v1
	v_mul_f16_e32 v20, v26, v14
	;; [unrolled: 1-line block ×4, first 2 shown]
	v_fmac_f16_e32 v19, v15, v3
	v_fma_f16 v3, v16, v14, -v13
	v_fmac_f16_e32 v20, v16, v1
	v_fmac_f16_e32 v21, v17, v2
	v_fma_f16 v1, v17, v18, -v22
	v_pack_b32_f16 v2, v12, v9
	v_pack_b32_f16 v8, v8, v10
	;; [unrolled: 1-line block ×5, first 2 shown]
	ds_store_2addr_stride64_b32 v57, v4, v6 offset0:16 offset1:36
	ds_store_2addr_stride64_b32 v57, v7, v2 offset0:56 offset1:76
	;; [unrolled: 1-line block ×4, first 2 shown]
.LBB0_3:
	s_wait_alu 0xfffe
	s_or_b32 exec_lo, exec_lo, s14
	global_wb scope:SCOPE_SE
	s_wait_dscnt 0x0
	s_wait_kmcnt 0x0
	s_barrier_signal -1
	s_barrier_wait -1
	global_inv scope:SCOPE_SE
	ds_load_2addr_stride64_b32 v[8:9], v57 offset1:8
	ds_load_2addr_stride64_b32 v[6:7], v57 offset0:20 offset1:28
	ds_load_2addr_stride64_b32 v[2:3], v57 offset0:40 offset1:48
	;; [unrolled: 1-line block ×7, first 2 shown]
	s_load_b64 s[0:1], s[0:1], 0x8
                                        ; implicit-def: $vgpr12
                                        ; implicit-def: $vgpr15
                                        ; implicit-def: $vgpr16
                                        ; implicit-def: $vgpr18
	s_and_saveexec_b32 s2, vcc_lo
	s_cbranch_execz .LBB0_5
; %bb.4:
	ds_load_2addr_stride64_b32 v[12:13], v57 offset0:16 offset1:36
	ds_load_2addr_stride64_b32 v[16:17], v57 offset0:56 offset1:136
	ds_load_2addr_stride64_b32 v[14:15], v57 offset0:76 offset1:96
	ds_load_2addr_stride64_b32 v[18:19], v57 offset0:116 offset1:156
.LBB0_5:
	s_wait_alu 0xfffe
	s_or_b32 exec_lo, exec_lo, s2
	s_wait_dscnt 0x1
	v_pk_add_f16 v26, v2, v26 neg_lo:[0,1] neg_hi:[0,1]
	v_pk_add_f16 v22, v8, v22 neg_lo:[0,1] neg_hi:[0,1]
	s_wait_dscnt 0x0
	v_pk_add_f16 v24, v10, v24 neg_lo:[0,1] neg_hi:[0,1]
	v_pk_add_f16 v28, v6, v20 neg_lo:[0,1] neg_hi:[0,1]
	;; [unrolled: 1-line block ×3, first 2 shown]
	v_lshrrev_b32_e32 v1, 16, v26
	v_lshrrev_b32_e32 v4, 16, v22
	;; [unrolled: 1-line block ×4, first 2 shown]
	v_pk_add_f16 v25, v11, v25 neg_lo:[0,1] neg_hi:[0,1]
	v_sub_f16_e32 v1, v22, v1
	v_add_f16_e32 v33, v4, v26
	v_sub_f16_e32 v34, v28, v20
	v_add_f16_e32 v35, v29, v24
	v_pk_add_f16 v23, v9, v23 neg_lo:[0,1] neg_hi:[0,1]
	v_fma_f16 v36, v22, 2.0, -v1
	v_fma_f16 v4, v4, 2.0, -v33
	;; [unrolled: 1-line block ×4, first 2 shown]
	v_pk_add_f16 v21, v7, v21 neg_lo:[0,1] neg_hi:[0,1]
	v_lshrrev_b32_e32 v40, 16, v27
	v_lshrrev_b32_e32 v41, 16, v25
	v_fmamk_f16 v38, v37, 0xb9a8, v36
	v_fmamk_f16 v39, v29, 0xb9a8, v4
	;; [unrolled: 1-line block ×4, first 2 shown]
	v_sub_f16_e32 v41, v21, v41
	v_fmac_f16_e32 v38, 0xb9a8, v29
	v_fmac_f16_e32 v39, 0x39a8, v37
	v_lshrrev_b32_e32 v29, 16, v23
	v_sub_f16_e32 v37, v23, v40
	v_lshrrev_b32_e32 v40, 16, v21
	v_fma_f16 v42, v36, 2.0, -v38
	v_fma_f16 v45, v21, 2.0, -v41
	v_add_f16_e32 v36, v29, v27
	v_fma_f16 v43, v23, 2.0, -v37
	v_add_f16_e32 v44, v40, v25
	v_fmac_f16_e32 v46, 0xb9a8, v35
	v_fmac_f16_e32 v47, 0x39a8, v34
	v_fma_f16 v29, v29, 2.0, -v36
	v_fmamk_f16 v48, v45, 0xb9a8, v43
	v_fma_f16 v40, v40, 2.0, -v44
	v_fma_f16 v49, v4, 2.0, -v39
	;; [unrolled: 1-line block ×3, first 2 shown]
	v_pk_add_f16 v33, v12, v15 neg_lo:[0,1] neg_hi:[0,1]
	v_pk_add_f16 v18, v13, v18 neg_lo:[0,1] neg_hi:[0,1]
	v_fmamk_f16 v50, v40, 0xb9a8, v29
	v_fmac_f16_e32 v48, 0xb9a8, v40
	v_fma_f16 v40, v1, 2.0, -v46
	v_pk_add_f16 v1, v16, v17 neg_lo:[0,1] neg_hi:[0,1]
	v_lshrrev_b32_e32 v34, 16, v33
	v_pk_add_f16 v19, v14, v19 neg_lo:[0,1] neg_hi:[0,1]
	v_lshrrev_b32_e32 v35, 16, v18
	v_fmac_f16_e32 v50, 0x39a8, v45
	v_lshrrev_b32_e32 v4, 16, v1
	v_fmamk_f16 v45, v41, 0x39a8, v37
	v_fmamk_f16 v52, v44, 0x39a8, v36
	v_add_f16_e32 v15, v1, v34
	v_pk_fma_f16 v14, v14, 2.0, v19 op_sel_hi:[1,0,1] neg_lo:[0,0,1] neg_hi:[0,0,1]
	v_sub_f16_e32 v4, v33, v4
	v_fmac_f16_e32 v45, 0xb9a8, v44
	v_pk_fma_f16 v1, v16, 2.0, v1 op_sel_hi:[1,0,1] neg_lo:[0,0,1] neg_hi:[0,0,1]
	v_pk_fma_f16 v16, v13, 2.0, v18 op_sel_hi:[1,0,1] neg_lo:[0,0,1] neg_hi:[0,0,1]
	v_fma_f16 v13, v34, 2.0, -v15
	v_fma_f16 v17, v33, 2.0, -v4
	v_pk_fma_f16 v33, v12, 2.0, v33 op_sel_hi:[1,0,1] neg_lo:[0,0,1] neg_hi:[0,0,1]
	v_lshrrev_b32_e32 v12, 16, v19
	v_add_f16_e32 v19, v19, v35
	v_fmac_f16_e32 v52, 0x39a8, v41
	v_pk_fma_f16 v8, v8, 2.0, v22 op_sel_hi:[1,0,1] neg_lo:[0,0,1] neg_hi:[0,0,1]
	v_pk_fma_f16 v6, v6, 2.0, v28 op_sel_hi:[1,0,1] neg_lo:[0,0,1] neg_hi:[0,0,1]
	v_sub_f16_e32 v44, v18, v12
	v_fma_f16 v35, v35, 2.0, -v19
	v_pk_fma_f16 v10, v10, 2.0, v24 op_sel_hi:[1,0,1] neg_lo:[0,0,1] neg_hi:[0,0,1]
	v_pk_fma_f16 v2, v2, 2.0, v26 op_sel_hi:[1,0,1] neg_lo:[0,0,1] neg_hi:[0,0,1]
	v_fma_f16 v41, v36, 2.0, -v52
	v_fma_f16 v18, v18, 2.0, -v44
	v_fmamk_f16 v90, v35, 0xb9a8, v13
	v_fmamk_f16 v36, v44, 0x39a8, v4
	v_pk_add_f16 v10, v6, v10 neg_lo:[0,1] neg_hi:[0,1]
	v_pk_add_f16 v2, v8, v2 neg_lo:[0,1] neg_hi:[0,1]
	v_fmamk_f16 v34, v18, 0xb9a8, v17
	v_fmac_f16_e32 v90, 0x39a8, v18
	v_fmamk_f16 v94, v19, 0x39a8, v15
	v_fmac_f16_e32 v36, 0xb9a8, v19
	v_lshrrev_b32_e32 v18, 16, v10
	v_lshrrev_b32_e32 v19, 16, v2
	v_pk_fma_f16 v6, v6, 2.0, v10 op_sel_hi:[1,0,1] neg_lo:[0,0,1] neg_hi:[0,0,1]
	v_pk_fma_f16 v9, v9, 2.0, v23 op_sel_hi:[1,0,1] neg_lo:[0,0,1] neg_hi:[0,0,1]
	;; [unrolled: 1-line block ×3, first 2 shown]
	v_sub_f16_e32 v18, v2, v18
	v_add_f16_e32 v10, v19, v10
	v_pk_fma_f16 v11, v11, 2.0, v25 op_sel_hi:[1,0,1] neg_lo:[0,0,1] neg_hi:[0,0,1]
	v_pk_fma_f16 v3, v3, 2.0, v27 op_sel_hi:[1,0,1] neg_lo:[0,0,1] neg_hi:[0,0,1]
	;; [unrolled: 1-line block ×3, first 2 shown]
	v_fma_f16 v2, v2, 2.0, -v18
	v_fma_f16 v19, v19, 2.0, -v10
	v_pk_add_f16 v11, v7, v11 neg_lo:[0,1] neg_hi:[0,1]
	v_pk_add_f16 v3, v9, v3 neg_lo:[0,1] neg_hi:[0,1]
	;; [unrolled: 1-line block ×4, first 2 shown]
	v_pack_b32_f16 v23, v2, v19
	v_lshrrev_b32_e32 v2, 16, v11
	v_lshrrev_b32_e32 v19, 16, v3
	v_pk_add_f16 v6, v8, v6 neg_lo:[0,1] neg_hi:[0,1]
	v_pk_fma_f16 v26, v9, 2.0, v3 op_sel_hi:[1,0,1] neg_lo:[0,0,1] neg_hi:[0,0,1]
	v_pk_fma_f16 v7, v7, 2.0, v11 op_sel_hi:[1,0,1] neg_lo:[0,0,1] neg_hi:[0,0,1]
	v_sub_f16_e32 v2, v3, v2
	v_add_f16_e32 v11, v19, v11
	v_or_b32_e32 v20, 0x200, v0
	v_pk_fma_f16 v14, v33, 2.0, v12 op_sel_hi:[1,0,1] neg_lo:[0,0,1] neg_hi:[0,0,1]
	v_pk_fma_f16 v1, v16, 2.0, v53 op_sel_hi:[1,0,1] neg_lo:[0,0,1] neg_hi:[0,0,1]
	v_fma_f16 v43, v43, 2.0, -v48
	v_fma_f16 v29, v29, 2.0, -v50
	v_fma_f16 v16, v37, 2.0, -v45
	v_pk_fma_f16 v21, v8, 2.0, v6 op_sel_hi:[1,0,1] neg_lo:[0,0,1] neg_hi:[0,0,1]
	v_pack_b32_f16 v8, v18, v10
	v_pk_add_f16 v25, v26, v7 neg_lo:[0,1] neg_hi:[0,1]
	v_fma_f16 v3, v3, 2.0, -v2
	v_fma_f16 v10, v19, 2.0, -v11
	v_pk_add_f16 v1, v14, v1 neg_lo:[0,1] neg_hi:[0,1]
	v_fmac_f16_e32 v34, 0xb9a8, v35
	v_pk_add_f16 v35, v12, v53 op_sel:[0,1] op_sel_hi:[1,0] neg_lo:[0,1] neg_hi:[0,1]
	v_pk_add_f16 v33, v12, v53 op_sel:[0,1] op_sel_hi:[1,0]
	v_fmac_f16_e32 v94, 0x39a8, v44
	v_lshlrev_b32_e32 v98, 5, v0
	v_pack_b32_f16 v24, v40, v51
	v_pack_b32_f16 v22, v42, v49
	v_lshlrev_b32_e32 v99, 5, v20
	v_lshlrev_b32_e32 v91, 5, v5
	v_pack_b32_f16 v9, v46, v47
	v_pack_b32_f16 v7, v38, v39
	v_pk_fma_f16 v37, v26, 2.0, v25 op_sel_hi:[1,0,1] neg_lo:[0,0,1] neg_hi:[0,0,1]
	v_pack_b32_f16 v40, v16, v41
	v_pack_b32_f16 v39, v3, v10
	v_pack_b32_f16 v38, v43, v29
	v_pack_b32_f16 v28, v45, v52
	v_pack_b32_f16 v27, v2, v11
	v_pack_b32_f16 v26, v48, v50
	global_wb scope:SCOPE_SE
	s_wait_kmcnt 0x0
	s_barrier_signal -1
	s_barrier_wait -1
	global_inv scope:SCOPE_SE
	ds_store_b128 v98, v[21:24]
	ds_store_b128 v98, v[6:9] offset:16
	ds_store_b128 v99, v[37:40]
	ds_store_b128 v99, v[25:28] offset:16
	s_and_saveexec_b32 s2, vcc_lo
	s_cbranch_execz .LBB0_7
; %bb.6:
	v_bfi_b32 v3, 0xffff, v35, v33
	v_fma_f16 v2, v4, 2.0, -v36
	v_fma_f16 v4, v15, 2.0, -v94
	;; [unrolled: 1-line block ×4, first 2 shown]
	v_pk_fma_f16 v6, v14, 2.0, v1 op_sel_hi:[1,0,1] neg_lo:[0,0,1] neg_hi:[0,0,1]
	v_pk_fma_f16 v8, v12, 2.0, v3 op_sel_hi:[1,0,1] neg_lo:[0,0,1] neg_hi:[0,0,1]
	v_pack_b32_f16 v9, v2, v4
	v_perm_b32 v4, v94, v36, 0x5040100
	v_pack_b32_f16 v7, v7, v10
	v_perm_b32 v2, v90, v34, 0x5040100
	ds_store_b128 v91, v[6:9]
	ds_store_b128 v91, v[1:4] offset:16
.LBB0_7:
	s_wait_alu 0xfffe
	s_or_b32 exec_lo, exec_lo, s2
	v_and_b32_e32 v19, 7, v0
	global_wb scope:SCOPE_SE
	s_wait_dscnt 0x0
	s_barrier_signal -1
	s_barrier_wait -1
	global_inv scope:SCOPE_SE
	v_mad_co_u64_u32 v[2:3], null, v19, 12, s[0:1]
	v_or_b32_e32 v4, 0x1800, v57
	v_and_or_b32 v39, 0x7e0, v57, v19
	v_and_b32_e32 v38, 31, v0
	s_delay_alu instid0(VALU_DEP_3)
	v_and_or_b32 v42, 0x1fe0, v4, v19
	global_load_b96 v[6:8], v[2:3], off
	ds_load_2addr_stride64_b32 v[9:10], v57 offset1:8
	ds_load_2addr_stride64_b32 v[11:12], v57 offset0:32 offset1:40
	ds_load_2addr_stride64_b32 v[13:14], v57 offset0:64 offset1:80
	;; [unrolled: 1-line block ×8, first 2 shown]
	ds_load_b32 v29, v57 offset:36864
	ds_load_b32 v37, v57 offset:38912
	v_lshlrev_b32_e32 v2, 2, v20
	v_lshlrev_b32_e32 v3, 2, v5
	;; [unrolled: 1-line block ×3, first 2 shown]
	v_or_b32_e32 v5, 0x2000, v57
	v_lshlrev_b32_e32 v97, 2, v39
	v_and_or_b32 v40, 0xfe0, v2, v19
	v_and_or_b32 v41, 0x17e0, v3, v19
	global_wb scope:SCOPE_SE
	s_wait_loadcnt_dscnt 0x0
	v_and_or_b32 v43, 0x27e0, v5, v19
	v_lshrrev_b32_e32 v39, 16, v9
	v_lshlrev_b32_e32 v96, 2, v40
	v_lshlrev_b32_e32 v95, 2, v41
	v_lshrrev_b32_e32 v40, 16, v12
	v_lshrrev_b32_e32 v41, 16, v14
	v_lshrrev_b32_e32 v42, 16, v16
	v_lshrrev_b32_e32 v44, 16, v17
	v_lshrrev_b32_e32 v45, 16, v21
	v_lshrrev_b32_e32 v46, 16, v23
	v_lshrrev_b32_e32 v48, 16, v18
	v_lshrrev_b32_e32 v49, 16, v22
	v_lshrrev_b32_e32 v50, 16, v24
	v_lshrrev_b32_e32 v52, 16, v13
	v_lshrrev_b32_e32 v53, 16, v28
	v_lshrrev_b32_e32 v54, 16, v29
	v_lshrrev_b32_e32 v56, 16, v27
	v_lshrrev_b32_e32 v100, 16, v15
	v_lshrrev_b32_e32 v101, 16, v37
	v_lshlrev_b32_e32 v92, 2, v43
	v_lshrrev_b32_e32 v43, 16, v10
	v_lshrrev_b32_e32 v47, 16, v25
	;; [unrolled: 1-line block ×4, first 2 shown]
	v_mad_co_u64_u32 v[19:20], null, v38, 12, s[0:1]
	s_barrier_signal -1
	s_barrier_wait -1
	global_inv scope:SCOPE_SE
	v_lshrrev_b32_e32 v107, 16, v6
	v_lshrrev_b32_e32 v106, 16, v7
	;; [unrolled: 1-line block ×3, first 2 shown]
	s_delay_alu instid0(VALU_DEP_3) | instskip(SKIP_1) | instid1(VALU_DEP_4)
	v_mul_f16_e32 v102, v40, v107
	v_mul_f16_e32 v103, v12, v107
	;; [unrolled: 1-line block ×23, first 2 shown]
	v_mul_f16_e64 v128, v29, v105
	v_mul_f16_e64 v129, v56, v107
	;; [unrolled: 1-line block ×7, first 2 shown]
	v_fma_f16 v12, v12, v6, -v102
	v_fmac_f16_e32 v103, v40, v6
	v_fma_f16 v14, v14, v7, -v104
	v_fmac_f16_e32 v108, v41, v7
	;; [unrolled: 2-line block ×11, first 2 shown]
	v_fma_f16 v29, v29, v8, -v127
	v_fmac_f16_e64 v128, v54, v8
	v_fma_f16 v27, v27, v6, -v129
	v_fmac_f16_e64 v130, v56, v6
	;; [unrolled: 2-line block ×4, first 2 shown]
	v_sub_f16_e32 v14, v9, v14
	v_sub_f16_e32 v40, v39, v108
	;; [unrolled: 1-line block ×15, first 2 shown]
	v_sub_f16_e64 v49, v124, v128
	v_sub_f16_e32 v15, v11, v15
	v_sub_f16_e64 v50, v55, v132
	v_sub_f16_e32 v37, v27, v37
	v_sub_f16_e64 v52, v130, v134
	v_fma_f16 v9, v9, 2.0, -v14
	v_fma_f16 v39, v39, 2.0, -v40
	;; [unrolled: 1-line block ×20, first 2 shown]
	v_sub_f16_e32 v41, v14, v41
	v_add_f16_e32 v16, v40, v16
	v_sub_f16_e32 v12, v9, v12
	v_sub_f16_e32 v53, v39, v53
	v_sub_f16_e32 v44, v21, v44
	v_add_f16_e32 v23, v42, v23
	v_sub_f16_e32 v17, v10, v17
	v_sub_f16_e32 v54, v43, v54
	;; [unrolled: 4-line block ×4, first 2 shown]
	v_sub_f16_e32 v27, v11, v27
	v_sub_f16_e32 v101, v55, v101
	;; [unrolled: 1-line block ×3, first 2 shown]
	v_add_f16_e32 v37, v50, v37
	v_fma_f16 v14, v14, 2.0, -v41
	v_fma_f16 v40, v40, 2.0, -v16
	;; [unrolled: 1-line block ×6, first 2 shown]
	v_pack_b32_f16 v16, v41, v16
	v_fma_f16 v10, v10, 2.0, -v17
	v_fma_f16 v41, v43, 2.0, -v54
	;; [unrolled: 1-line block ×6, first 2 shown]
	v_pack_b32_f16 v12, v12, v53
	v_fma_f16 v28, v28, 2.0, -v49
	v_fma_f16 v48, v48, 2.0, -v29
	v_pack_b32_f16 v23, v44, v23
	v_pack_b32_f16 v24, v46, v24
	v_fma_f16 v26, v26, 2.0, -v13
	v_fma_f16 v44, v51, 2.0, -v100
	;; [unrolled: 1-line block ×6, first 2 shown]
	v_pack_b32_f16 v29, v49, v29
	v_pack_b32_f16 v37, v52, v37
	;; [unrolled: 1-line block ×11, first 2 shown]
	ds_store_2addr_b32 v97, v12, v16 offset0:16 offset1:24
	v_pack_b32_f16 v12, v25, v43
	v_pack_b32_f16 v28, v28, v48
	;; [unrolled: 1-line block ×5, first 2 shown]
	ds_store_2addr_b32 v96, v17, v23 offset0:16 offset1:24
	ds_store_2addr_b32 v95, v18, v24 offset0:16 offset1:24
	;; [unrolled: 1-line block ×4, first 2 shown]
	ds_store_2addr_b32 v97, v9, v14 offset1:8
	ds_store_2addr_b32 v96, v10, v21 offset1:8
	;; [unrolled: 1-line block ×5, first 2 shown]
	global_wb scope:SCOPE_SE
	s_wait_dscnt 0x0
	s_barrier_signal -1
	s_barrier_wait -1
	global_inv scope:SCOPE_SE
	global_load_b96 v[9:11], v[19:20], off offset:96
	v_and_or_b32 v22, 0x780, v57, v38
	v_and_or_b32 v37, 0xf80, v2, v38
	;; [unrolled: 1-line block ×5, first 2 shown]
	ds_load_2addr_stride64_b32 v[14:15], v57 offset1:8
	ds_load_2addr_stride64_b32 v[16:17], v57 offset0:32 offset1:40
	ds_load_2addr_stride64_b32 v[18:19], v57 offset0:64 offset1:80
	;; [unrolled: 1-line block ×3, first 2 shown]
	v_lshlrev_b32_e32 v103, 2, v22
	ds_load_2addr_stride64_b32 v[22:23], v57 offset0:48 offset1:56
	ds_load_2addr_stride64_b32 v[24:25], v57 offset0:88 offset1:96
	;; [unrolled: 1-line block ×4, first 2 shown]
	v_lshlrev_b32_e32 v104, 2, v37
	v_lshlrev_b32_e32 v102, 2, v40
	;; [unrolled: 1-line block ×4, first 2 shown]
	ds_load_2addr_stride64_b32 v[37:38], v57 offset0:72 offset1:104
	ds_load_b32 v40, v57 offset:36864
	ds_load_b32 v41, v57 offset:38912
	v_and_b32_e32 v39, 0x7f, v0
	global_wb scope:SCOPE_SE
	s_wait_loadcnt_dscnt 0x0
	s_barrier_signal -1
	s_barrier_wait -1
	global_inv scope:SCOPE_SE
	v_mad_co_u64_u32 v[12:13], null, v39, 12, s[0:1]
	v_lshrrev_b32_e32 v42, 16, v14
	v_lshrrev_b32_e32 v43, 16, v17
	v_lshrrev_b32_e32 v44, 16, v19
	v_lshrrev_b32_e32 v45, 16, v21
	v_lshrrev_b32_e32 v47, 16, v22
	v_lshrrev_b32_e32 v48, 16, v24
	v_lshrrev_b32_e32 v49, 16, v26
	v_lshrrev_b32_e32 v51, 16, v23
	v_lshrrev_b32_e32 v52, 16, v25
	v_lshrrev_b32_e32 v53, 16, v27
	v_lshrrev_b32_e32 v55, 16, v18
	v_lshrrev_b32_e32 v56, 16, v38
	v_lshrrev_b32_e32 v108, 16, v40
	v_lshrrev_b32_e32 v110, 16, v37
	v_lshrrev_b32_e32 v111, 16, v20
	v_lshrrev_b32_e32 v112, 16, v41
	v_lshrrev_b32_e32 v46, 16, v15
	v_lshrrev_b32_e32 v50, 16, v28
	v_lshrrev_b32_e32 v54, 16, v29
	v_lshrrev_b32_e32 v109, 16, v16
	v_lshrrev_b32_e32 v115, 16, v9
	v_lshrrev_b32_e32 v114, 16, v10
	v_lshrrev_b32_e32 v113, 16, v11
	s_delay_alu instid0(VALU_DEP_3) | instskip(SKIP_1) | instid1(VALU_DEP_4)
	v_mul_f16_e32 v116, v43, v115
	v_mul_f16_e32 v117, v17, v115
	v_mul_f16_e32 v118, v44, v114
	v_mul_f16_e32 v119, v19, v114
	v_mul_f16_e32 v120, v45, v113
	v_mul_f16_e32 v121, v21, v113
	v_mul_f16_e32 v122, v47, v115
	v_mul_f16_e32 v123, v22, v115
	v_mul_f16_e32 v124, v48, v114
	v_mul_f16_e32 v125, v24, v114
	v_mul_f16_e32 v126, v49, v113
	v_mul_f16_e32 v127, v26, v113
	v_mul_f16_e64 v128, v51, v115
	v_mul_f16_e64 v129, v23, v115
	;; [unrolled: 1-line block ×18, first 2 shown]
	v_fma_f16 v17, v17, v9, -v116
	v_fmac_f16_e32 v117, v43, v9
	v_fma_f16 v19, v19, v10, -v118
	v_fmac_f16_e32 v119, v44, v10
	;; [unrolled: 2-line block ×6, first 2 shown]
	v_fma_f16 v23, v23, v9, -v128
	v_fmac_f16_e64 v129, v51, v9
	v_fma_f16 v25, v25, v10, -v130
	v_fmac_f16_e64 v131, v52, v10
	;; [unrolled: 2-line block ×9, first 2 shown]
	v_sub_f16_e32 v19, v14, v19
	v_sub_f16_e32 v43, v42, v119
	;; [unrolled: 1-line block ×9, first 2 shown]
	v_sub_f16_e64 v48, v50, v131
	v_sub_f16_e32 v27, v23, v27
	v_sub_f16_e64 v49, v129, v133
	v_sub_f16_e32 v38, v29, v38
	;; [unrolled: 2-line block ×5, first 2 shown]
	v_sub_f16_e64 v55, v141, v145
	v_fma_f16 v14, v14, 2.0, -v19
	v_fma_f16 v42, v42, 2.0, -v43
	;; [unrolled: 1-line block ×20, first 2 shown]
	v_sub_f16_e32 v44, v19, v44
	v_add_f16_e32 v21, v43, v21
	v_sub_f16_e32 v17, v14, v17
	v_sub_f16_e32 v56, v42, v56
	v_sub_f16_e32 v47, v24, v47
	v_add_f16_e32 v26, v45, v26
	v_sub_f16_e32 v22, v15, v22
	v_sub_f16_e32 v108, v46, v108
	;; [unrolled: 4-line block ×5, first 2 shown]
	v_fma_f16 v19, v19, 2.0, -v44
	v_fma_f16 v43, v43, 2.0, -v21
	;; [unrolled: 1-line block ×6, first 2 shown]
	v_pack_b32_f16 v21, v44, v21
	v_fma_f16 v15, v15, 2.0, -v22
	v_fma_f16 v44, v46, 2.0, -v108
	;; [unrolled: 1-line block ×6, first 2 shown]
	v_pack_b32_f16 v17, v17, v56
	v_fma_f16 v38, v38, 2.0, -v52
	v_fma_f16 v51, v51, 2.0, -v40
	v_pack_b32_f16 v26, v47, v26
	v_fma_f16 v29, v29, 2.0, -v18
	v_fma_f16 v47, v54, 2.0, -v111
	;; [unrolled: 1-line block ×4, first 2 shown]
	v_pack_b32_f16 v27, v49, v27
	v_pack_b32_f16 v40, v52, v40
	;; [unrolled: 1-line block ×3, first 2 shown]
	v_fma_f16 v16, v16, 2.0, -v37
	v_fma_f16 v49, v109, 2.0, -v112
	v_pack_b32_f16 v22, v22, v108
	v_pack_b32_f16 v23, v23, v110
	;; [unrolled: 1-line block ×9, first 2 shown]
	ds_store_2addr_b32 v103, v17, v21 offset0:64 offset1:96
	v_pack_b32_f16 v17, v28, v46
	v_pack_b32_f16 v38, v38, v51
	;; [unrolled: 1-line block ×4, first 2 shown]
	ds_store_2addr_b32 v104, v22, v26 offset0:64 offset1:96
	ds_store_2addr_b32 v102, v23, v27 offset0:64 offset1:96
	;; [unrolled: 1-line block ×3, first 2 shown]
	v_pack_b32_f16 v16, v16, v49
	ds_store_2addr_b32 v100, v37, v41 offset0:64 offset1:96
	ds_store_2addr_b32 v103, v14, v19 offset1:32
	ds_store_2addr_b32 v104, v15, v24 offset1:32
	;; [unrolled: 1-line block ×5, first 2 shown]
	global_wb scope:SCOPE_SE
	s_wait_dscnt 0x0
	s_barrier_signal -1
	s_barrier_wait -1
	global_inv scope:SCOPE_SE
	global_load_b96 v[12:14], v[12:13], off offset:480
	v_and_or_b32 v19, 0x600, v57, v39
	v_and_or_b32 v27, 0xe00, v2, v39
	;; [unrolled: 1-line block ×5, first 2 shown]
	ds_load_2addr_stride64_b32 v[2:3], v57 offset1:8
	ds_load_2addr_stride64_b32 v[4:5], v57 offset0:32 offset1:40
	ds_load_2addr_stride64_b32 v[15:16], v57 offset0:64 offset1:80
	;; [unrolled: 1-line block ×3, first 2 shown]
	v_lshlrev_b32_e32 v111, 2, v19
	ds_load_2addr_stride64_b32 v[19:20], v57 offset0:48 offset1:56
	ds_load_2addr_stride64_b32 v[21:22], v57 offset0:88 offset1:96
	;; [unrolled: 1-line block ×4, first 2 shown]
	v_lshlrev_b32_e32 v112, 2, v27
	v_lshlrev_b32_e32 v110, 2, v28
	;; [unrolled: 1-line block ×4, first 2 shown]
	ds_load_2addr_stride64_b32 v[27:28], v57 offset0:72 offset1:104
	ds_load_b32 v37, v57 offset:36864
	ds_load_b32 v38, v57 offset:38912
	v_lshlrev_b32_e32 v29, 4, v0
	global_wb scope:SCOPE_SE
	s_wait_loadcnt_dscnt 0x0
	s_barrier_signal -1
	s_barrier_wait -1
	global_inv scope:SCOPE_SE
	v_lshrrev_b32_e32 v39, 16, v2
	v_lshrrev_b32_e32 v40, 16, v5
	v_lshrrev_b32_e32 v41, 16, v16
	v_lshrrev_b32_e32 v42, 16, v18
	v_lshrrev_b32_e32 v44, 16, v19
	v_lshrrev_b32_e32 v45, 16, v21
	v_lshrrev_b32_e32 v46, 16, v23
	v_lshrrev_b32_e32 v48, 16, v20
	v_lshrrev_b32_e32 v49, 16, v22
	v_lshrrev_b32_e32 v50, 16, v24
	v_lshrrev_b32_e32 v52, 16, v15
	v_lshrrev_b32_e32 v53, 16, v28
	v_lshrrev_b32_e32 v54, 16, v37
	v_lshrrev_b32_e32 v56, 16, v27
	v_lshrrev_b32_e32 v119, 16, v17
	v_lshrrev_b32_e32 v120, 16, v38
	v_lshrrev_b32_e32 v43, 16, v3
	v_lshrrev_b32_e32 v47, 16, v25
	v_lshrrev_b32_e32 v51, 16, v26
	v_lshrrev_b32_e32 v55, 16, v4
	v_lshrrev_b32_e32 v118, 16, v12
	v_lshrrev_b32_e32 v117, 16, v13
	v_lshrrev_b32_e32 v116, 16, v14
	s_delay_alu instid0(VALU_DEP_3) | instskip(SKIP_1) | instid1(VALU_DEP_4)
	v_mul_f16_e32 v121, v40, v118
	v_mul_f16_e32 v122, v5, v118
	;; [unrolled: 1-line block ×7, first 2 shown]
	v_mul_f16_e64 v128, v19, v118
	v_mul_f16_e64 v129, v45, v117
	;; [unrolled: 1-line block ×23, first 2 shown]
	v_fma_f16 v5, v5, v12, -v121
	v_fmac_f16_e32 v122, v40, v12
	v_fma_f16 v16, v16, v13, -v123
	v_fmac_f16_e32 v124, v41, v13
	;; [unrolled: 2-line block ×3, first 2 shown]
	v_fma_f16 v19, v19, v12, -v127
	v_fmac_f16_e64 v128, v44, v12
	v_fma_f16 v21, v21, v13, -v129
	v_fmac_f16_e64 v130, v45, v13
	;; [unrolled: 2-line block ×12, first 2 shown]
	v_sub_f16_e32 v16, v2, v16
	v_sub_f16_e32 v40, v39, v124
	;; [unrolled: 1-line block ×5, first 2 shown]
	v_sub_f16_e64 v42, v43, v130
	v_sub_f16_e32 v23, v19, v23
	v_sub_f16_e64 v44, v128, v132
	v_sub_f16_e32 v22, v25, v22
	;; [unrolled: 2-line block ×7, first 2 shown]
	v_sub_f16_e64 v52, v146, v150
	v_fma_f16 v2, v2, 2.0, -v16
	v_fma_f16 v39, v39, 2.0, -v40
	;; [unrolled: 1-line block ×20, first 2 shown]
	v_sub_f16_e32 v41, v16, v41
	v_add_f16_e32 v18, v40, v18
	v_sub_f16_e32 v5, v2, v5
	v_sub_f16_e32 v53, v39, v53
	v_sub_f16_e32 v44, v21, v44
	v_add_f16_e32 v23, v42, v23
	v_sub_f16_e32 v19, v3, v19
	v_sub_f16_e32 v54, v43, v54
	;; [unrolled: 4-line block ×4, first 2 shown]
	v_sub_f16_e32 v27, v4, v27
	v_sub_f16_e32 v120, v55, v120
	;; [unrolled: 1-line block ×3, first 2 shown]
	v_add_f16_e32 v38, v50, v38
	v_fma_f16 v16, v16, 2.0, -v41
	v_fma_f16 v40, v40, 2.0, -v18
	;; [unrolled: 1-line block ×6, first 2 shown]
	v_pack_b32_f16 v18, v41, v18
	v_fma_f16 v3, v3, 2.0, -v19
	v_fma_f16 v41, v43, 2.0, -v54
	;; [unrolled: 1-line block ×6, first 2 shown]
	v_pack_b32_f16 v5, v5, v53
	v_fma_f16 v28, v28, 2.0, -v49
	v_fma_f16 v48, v48, 2.0, -v37
	v_pack_b32_f16 v23, v44, v23
	v_pack_b32_f16 v24, v46, v24
	v_fma_f16 v26, v26, 2.0, -v15
	v_fma_f16 v44, v51, 2.0, -v119
	;; [unrolled: 1-line block ×6, first 2 shown]
	v_pack_b32_f16 v37, v49, v37
	v_pack_b32_f16 v38, v52, v38
	v_pack_b32_f16 v19, v19, v54
	v_pack_b32_f16 v20, v20, v56
	v_pack_b32_f16 v15, v15, v119
	v_pack_b32_f16 v27, v27, v120
	v_pack_b32_f16 v16, v16, v40
	v_pack_b32_f16 v2, v2, v39
	v_pack_b32_f16 v21, v21, v42
	v_pack_b32_f16 v3, v3, v41
	v_pack_b32_f16 v22, v22, v45
	ds_store_2addr_stride64_b32 v111, v5, v18 offset0:4 offset1:6
	v_pack_b32_f16 v5, v25, v43
	v_pack_b32_f16 v28, v28, v48
	;; [unrolled: 1-line block ×5, first 2 shown]
	ds_store_2addr_stride64_b32 v112, v19, v23 offset0:4 offset1:6
	ds_store_2addr_stride64_b32 v110, v20, v24 offset0:4 offset1:6
	;; [unrolled: 1-line block ×4, first 2 shown]
	ds_store_2addr_stride64_b32 v111, v2, v16 offset1:2
	ds_store_2addr_stride64_b32 v112, v3, v21 offset1:2
	ds_store_2addr_stride64_b32 v110, v5, v22 offset1:2
	ds_store_2addr_stride64_b32 v109, v18, v28 offset1:2
	ds_store_2addr_stride64_b32 v108, v4, v17 offset1:2
	global_wb scope:SCOPE_SE
	s_wait_dscnt 0x0
	s_barrier_signal -1
	s_barrier_wait -1
	global_inv scope:SCOPE_SE
	global_load_b128 v[2:5], v29, s[0:1] offset:2016
	v_add_co_u32 v29, s0, s0, v29
	ds_load_2addr_stride64_b32 v[15:16], v57 offset1:8
	ds_load_2addr_stride64_b32 v[23:24], v57 offset0:32 offset1:40
	ds_load_2addr_stride64_b32 v[19:20], v57 offset0:64 offset1:80
	;; [unrolled: 1-line block ×7, first 2 shown]
	s_wait_alu 0xf1ff
	v_add_co_ci_u32_e64 v38, null, s1, 0, s0
	v_sub_co_u32 v37, s0, v29, v57
	ds_load_2addr_stride64_b32 v[41:42], v57 offset0:112 offset1:120
	ds_load_b32 v29, v57 offset:36864
	ds_load_b32 v43, v57 offset:38912
	s_wait_alu 0xf1ff
	v_subrev_co_ci_u32_e64 v38, s0, 0, v38, s0
	global_wb scope:SCOPE_SE
	s_wait_loadcnt_dscnt 0x0
	s_barrier_signal -1
	s_barrier_wait -1
	global_inv scope:SCOPE_SE
	s_add_nc_u64 s[0:1], s[12:13], 0xa000
	v_lshrrev_b32_e32 v44, 16, v15
	v_lshrrev_b32_e32 v45, 16, v23
	;; [unrolled: 1-line block ×24, first 2 shown]
	s_delay_alu instid0(VALU_DEP_4)
	v_mul_f16_e64 v130, v45, v122
	v_mul_f16_e64 v131, v23, v122
	;; [unrolled: 1-line block ×32, first 2 shown]
	v_fmac_f16_e64 v131, v45, v2
	v_fmac_f16_e64 v133, v46, v3
	;; [unrolled: 1-line block ×3, first 2 shown]
	v_fma_f16 v23, v23, v2, -v130
	v_fma_f16 v19, v19, v3, -v132
	;; [unrolled: 1-line block ×5, first 2 shown]
	v_fmac_f16_e64 v139, v50, v2
	v_fma_f16 v39, v39, v2, -v146
	v_fmac_f16_e64 v147, v55, v2
	v_fmac_f16_e64 v137, v48, v5
	v_fma_f16 v40, v40, v2, -v154
	v_fmac_f16_e64 v155, v126, v2
	v_fma_f16 v25, v25, v3, -v140
	;; [unrolled: 2-line block ×10, first 2 shown]
	v_fmac_f16_e64 v161, v129, v5
	v_sub_f16_e32 v45, v23, v19
	v_sub_f16_e32 v46, v21, v18
	;; [unrolled: 1-line block ×4, first 2 shown]
	v_add_f16_e64 v50, v44, v131
	v_add_f16_e64 v51, v133, v135
	v_add_f16_e32 v124, v16, v24
	v_add_f16_e64 v134, v49, v139
	v_add_f16_e64 v156, v54, v147
	;; [unrolled: 1-line block ×9, first 2 shown]
	v_sub_f16_e64 v52, v131, v133
	v_sub_f16_e64 v53, v137, v135
	;; [unrolled: 1-line block ×4, first 2 shown]
	v_add_f16_e32 v126, v25, v26
	v_add_f16_e64 v129, v24, v22
	v_add_f16_e64 v136, v141, v143
	;; [unrolled: 1-line block ×3, first 2 shown]
	v_sub_f16_e32 v127, v24, v25
	v_sub_f16_e64 v128, v22, v26
	v_sub_f16_e64 v130, v25, v24
	;; [unrolled: 1-line block ×9, first 2 shown]
	v_add_f16_e64 v158, v149, v151
	v_add_f16_e64 v163, v147, v153
	;; [unrolled: 1-line block ×8, first 2 shown]
	v_sub_f16_e64 v152, v20, v39
	v_sub_f16_e64 v182, v19, v18
	;; [unrolled: 1-line block ×4, first 2 shown]
	v_sub_f16_e32 v23, v23, v21
	v_sub_f16_e64 v185, v25, v26
	v_sub_f16_e64 v187, v141, v143
	;; [unrolled: 1-line block ×3, first 2 shown]
	v_add_f16_e32 v45, v45, v46
	v_add_f16_e32 v46, v47, v48
	v_fma_f16 v48, -0.5, v51, v44
	v_add_f16_e64 v19, v180, v19
	v_add_f16_e64 v50, v50, v133
	v_add_f16_e32 v25, v124, v25
	v_add_f16_e64 v124, v134, v141
	v_add_f16_e64 v20, v186, v20
	;; [unrolled: 1-line block ×3, first 2 shown]
	v_fma_f16 v141, -0.5, v181, v15
	v_sub_f16_e64 v168, v40, v17
	v_sub_f16_e64 v171, v17, v40
	v_sub_f16_e64 v193, v17, v42
	v_fmac_f16_e32 v44, -0.5, v55
	v_add_f16_e64 v134, v177, v157
	v_add_f16_e64 v17, v166, v17
	v_fma_f16 v15, -0.5, v184, v15
	v_sub_f16_e64 v139, v139, v145
	v_sub_f16_e32 v24, v24, v22
	v_add_f16_e32 v47, v52, v53
	v_add_f16_e32 v51, v56, v123
	v_fma_f16 v53, -0.5, v126, v16
	v_fmac_f16_e64 v16, -0.5, v129
	v_fma_f16 v123, -0.5, v136, v49
	v_fmac_f16_e64 v49, -0.5, v142
	v_sub_f16_e64 v154, v41, v29
	v_sub_f16_e64 v160, v147, v149
	;; [unrolled: 1-line block ×6, first 2 shown]
	v_sub_f16_e32 v39, v39, v29
	v_sub_f16_e64 v192, v157, v159
	v_add_f16_e64 v52, v127, v128
	v_add_f16_e64 v55, v130, v132
	;; [unrolled: 1-line block ×5, first 2 shown]
	v_fma_f16 v130, -0.5, v158, v54
	v_fmac_f16_e64 v54, -0.5, v163
	v_fma_f16 v138, -0.5, v167, v28
	v_fmac_f16_e64 v28, -0.5, v170
	;; [unrolled: 2-line block ×3, first 2 shown]
	v_fma_f16 v148, -0.5, v188, v27
	v_fma_f16 v27, -0.5, v191, v27
	v_sub_f16_e64 v174, v155, v157
	v_sub_f16_e64 v178, v157, v155
	;; [unrolled: 1-line block ×3, first 2 shown]
	v_sub_f16_e32 v40, v40, v43
	v_add_f16_e32 v18, v19, v18
	v_add_f16_e64 v19, v50, v135
	v_add_f16_e32 v20, v20, v41
	v_add_f16_e64 v41, v133, v151
	v_fma_f16 v50, 0x3b9c, v131, v141
	v_fma_f16 v133, 0xbb9c, v23, v48
	v_sub_f16_e64 v169, v43, v42
	v_sub_f16_e64 v172, v42, v43
	v_add_f16_e32 v25, v25, v26
	v_add_f16_e64 v26, v124, v143
	v_add_f16_e32 v17, v17, v42
	v_fma_f16 v42, 0xbb9c, v183, v15
	v_fmac_f16_e64 v15, 0x3b9c, v183
	v_add_f16_e64 v124, v134, v159
	v_fma_f16 v134, 0x3b9c, v182, v44
	v_fmac_f16_e64 v44, 0xbb9c, v182
	v_fmac_f16_e64 v141, 0xbb9c, v131
	v_fmac_f16_e32 v48, 0x3b9c, v23
	v_fma_f16 v135, 0x3b9c, v139, v53
	v_fma_f16 v143, 0xbb9c, v187, v16
	;; [unrolled: 1-line block ×4, first 2 shown]
	v_sub_f16_e64 v165, v151, v153
	v_sub_f16_e64 v179, v159, v161
	v_add_f16_e64 v128, v152, v154
	v_add_f16_e64 v129, v160, v162
	v_fmac_f16_e64 v53, 0xbb9c, v139
	v_fmac_f16_e64 v16, 0x3b9c, v187
	v_fmac_f16_e32 v123, 0x3b9c, v24
	v_fmac_f16_e64 v49, 0xbb9c, v185
	v_fma_f16 v151, 0x3b9c, v147, v148
	v_fma_f16 v152, 0xbb9c, v189, v27
	v_fmac_f16_e64 v27, 0x3b9c, v189
	v_fma_f16 v154, 0xbb9c, v39, v130
	v_fma_f16 v156, 0x3b9c, v190, v54
	v_fmac_f16_e64 v54, 0xbb9c, v190
	v_fma_f16 v158, 0xbb9c, v192, v28
	v_fmac_f16_e64 v28, 0x3b9c, v192
	v_fma_f16 v160, 0x3b9c, v193, v125
	v_fmac_f16_e64 v125, 0xbb9c, v193
	v_sub_f16_e64 v175, v161, v159
	v_fmac_f16_e64 v148, 0xbb9c, v147
	v_fmac_f16_e64 v130, 0x3b9c, v39
	v_fma_f16 v157, 0x3b9c, v155, v138
	v_fmac_f16_e64 v138, 0xbb9c, v155
	v_fma_f16 v159, 0xbb9c, v40, v144
	v_fmac_f16_e64 v144, 0x3b9c, v40
	v_fmac_f16_e64 v50, 0x38b4, v183
	;; [unrolled: 1-line block ×6, first 2 shown]
	v_fmac_f16_e32 v44, 0x38b4, v23
	v_fmac_f16_e64 v141, 0xb8b4, v183
	v_fmac_f16_e64 v48, 0x38b4, v182
	;; [unrolled: 1-line block ×6, first 2 shown]
	v_add_f16_e64 v132, v164, v165
	v_add_f16_e64 v140, v171, v172
	v_add_f16_e64 v146, v178, v179
	v_fmac_f16_e64 v53, 0xb8b4, v187
	v_fmac_f16_e64 v16, 0xb8b4, v139
	;; [unrolled: 1-line block ×3, first 2 shown]
	v_fmac_f16_e32 v49, 0x38b4, v24
	v_fmac_f16_e64 v151, 0x38b4, v189
	v_fmac_f16_e64 v27, 0xb8b4, v147
	;; [unrolled: 1-line block ×3, first 2 shown]
	v_fmac_f16_e32 v54, 0x38b4, v39
	v_fmac_f16_e64 v28, 0xb8b4, v155
	v_fmac_f16_e32 v125, 0x38b4, v40
	v_add_f16_e64 v136, v168, v169
	v_add_f16_e64 v142, v174, v175
	v_add_f16_e32 v18, v18, v21
	v_add_f16_e64 v19, v19, v137
	v_add_f16_e32 v21, v25, v22
	v_add_f16_e64 v22, v26, v145
	v_fmac_f16_e64 v148, 0xb8b4, v189
	v_fmac_f16_e64 v152, 0x38b4, v147
	;; [unrolled: 1-line block ×10, first 2 shown]
	v_fmac_f16_e32 v50, 0x34f2, v45
	v_fmac_f16_e64 v133, 0x34f2, v47
	v_fmac_f16_e32 v42, 0x34f2, v46
	v_fmac_f16_e32 v15, 0x34f2, v46
	v_fmac_f16_e64 v134, 0x34f2, v51
	v_fmac_f16_e32 v44, 0x34f2, v51
	v_add_f16_e32 v20, v20, v29
	v_add_f16_e64 v23, v41, v153
	v_fmac_f16_e64 v141, 0x34f2, v45
	v_fmac_f16_e32 v48, 0x34f2, v47
	v_add_f16_e32 v17, v17, v43
	v_add_f16_e64 v24, v124, v161
	v_fmac_f16_e64 v135, 0x34f2, v52
	v_fmac_f16_e64 v143, 0x34f2, v55
	;; [unrolled: 1-line block ×4, first 2 shown]
	v_fmac_f16_e32 v53, 0x34f2, v52
	v_fmac_f16_e32 v16, 0x34f2, v55
	;; [unrolled: 1-line block ×4, first 2 shown]
	v_fmac_f16_e64 v151, 0x34f2, v127
	v_fmac_f16_e64 v27, 0x34f2, v128
	;; [unrolled: 1-line block ×16, first 2 shown]
	v_pack_b32_f16 v18, v18, v19
	v_pack_b32_f16 v19, v21, v22
	;; [unrolled: 1-line block ×20, first 2 shown]
	ds_store_2addr_stride64_b32 v57, v18, v21 offset1:8
	ds_store_2addr_stride64_b32 v57, v22, v15 offset0:16 offset1:24
	ds_store_2addr_stride64_b32 v57, v23, v19 offset0:32 offset1:40
	;; [unrolled: 1-line block ×8, first 2 shown]
	ds_store_b32 v57, v28 offset:36864
	ds_store_b32 v57, v43 offset:38912
	global_wb scope:SCOPE_SE
	s_wait_dscnt 0x0
	s_barrier_signal -1
	s_barrier_wait -1
	global_inv scope:SCOPE_SE
	s_clause 0x4
	global_load_b96 v[21:23], v[37:38], off offset:10208
	global_load_b96 v[24:26], v[37:38], off offset:16352
	;; [unrolled: 1-line block ×5, first 2 shown]
	ds_load_2addr_stride64_b32 v[41:42], v57 offset0:64 offset1:80
	ds_load_2addr_stride64_b32 v[43:44], v57 offset0:112 offset1:120
	;; [unrolled: 1-line block ×6, first 2 shown]
	ds_load_2addr_stride64_b32 v[39:40], v57 offset1:8
	ds_load_2addr_stride64_b32 v[37:38], v57 offset0:32 offset1:40
	ds_load_b32 v55, v57 offset:36864
	ds_load_b32 v56, v57 offset:38912
	ds_load_2addr_stride64_b32 v[53:54], v57 offset0:16 offset1:24
	s_wait_dscnt 0xa
	v_lshrrev_b32_e32 v138, 16, v42
	s_wait_dscnt 0x9
	v_lshrrev_b32_e32 v139, 16, v44
	;; [unrolled: 2-line block ×5, first 2 shown]
	v_lshrrev_b32_e32 v143, 16, v46
	v_lshrrev_b32_e32 v144, 16, v48
	s_wait_dscnt 0x3
	v_lshrrev_b32_e32 v151, 16, v38
	v_lshrrev_b32_e32 v145, 16, v50
	;; [unrolled: 1-line block ×4, first 2 shown]
	s_wait_dscnt 0x2
	v_lshrrev_b32_e32 v153, 16, v55
	v_lshrrev_b32_e32 v148, 16, v51
	v_lshrrev_b32_e32 v149, 16, v43
	s_wait_dscnt 0x1
	v_lshrrev_b32_e32 v154, 16, v56
	v_lshrrev_b32_e32 v150, 16, v39
	v_lshrrev_b32_e32 v152, 16, v40
	;; [unrolled: 4-line block ×3, first 2 shown]
	s_wait_loadcnt 0x4
	v_lshrrev_b32_e32 v136, 16, v22
	v_lshrrev_b32_e32 v135, 16, v23
	s_wait_loadcnt 0x3
	v_lshrrev_b32_e32 v134, 16, v24
	v_lshrrev_b32_e32 v133, 16, v25
	;; [unrolled: 1-line block ×4, first 2 shown]
	s_wait_loadcnt 0x2
	v_lshrrev_b32_e32 v131, 16, v27
	v_lshrrev_b32_e32 v130, 16, v28
	v_lshrrev_b32_e32 v129, 16, v29
	s_wait_loadcnt 0x1
	v_lshrrev_b32_e32 v128, 16, v18
	v_lshrrev_b32_e32 v127, 16, v19
	v_lshrrev_b32_e32 v126, 16, v20
	;; [unrolled: 4-line block ×3, first 2 shown]
	v_mul_f16_e64 v158, v138, v136
	v_mul_f16_e64 v159, v42, v136
	;; [unrolled: 1-line block ×30, first 2 shown]
	v_fma_f16 v45, v45, v24, -v162
	v_fma_f16 v47, v47, v25, -v164
	;; [unrolled: 1-line block ×5, first 2 shown]
	v_fmac_f16_e64 v159, v138, v22
	v_fmac_f16_e64 v161, v139, v23
	;; [unrolled: 1-line block ×6, first 2 shown]
	v_fma_f16 v38, v38, v21, -v186
	v_fma_f16 v46, v46, v27, -v168
	;; [unrolled: 1-line block ×6, first 2 shown]
	v_fmac_f16_e64 v169, v143, v27
	v_fmac_f16_e64 v171, v144, v28
	;; [unrolled: 1-line block ×5, first 2 shown]
	v_fma_f16 v55, v55, v20, -v182
	v_fmac_f16_e64 v183, v153, v20
	v_fma_f16 v51, v51, v15, -v177
	v_fma_f16 v43, v43, v16, -v179
	v_fmac_f16_e64 v180, v148, v15
	v_fmac_f16_e64 v181, v149, v16
	v_fma_f16 v56, v56, v17, -v185
	v_fmac_f16_e64 v187, v154, v17
	v_sub_f16_e32 v42, v39, v42
	v_sub_f16_e32 v47, v40, v47
	v_sub_f16_e64 v139, v150, v159
	v_sub_f16_e32 v44, v38, v44
	v_sub_f16_e64 v138, v184, v161
	v_sub_f16_e64 v140, v152, v165
	v_sub_f16_e32 v49, v45, v49
	v_sub_f16_e64 v141, v163, v167
	v_sub_f16_e32 v48, v53, v48
	v_sub_f16_e32 v52, v54, v52
	v_sub_f16_e64 v142, v155, v171
	v_sub_f16_e32 v50, v46, v50
	v_sub_f16_e64 v143, v169, v173
	v_sub_f16_e64 v144, v156, v178
	v_sub_f16_e32 v55, v41, v55
	v_sub_f16_e64 v145, v175, v183
	v_sub_f16_e32 v43, v37, v43
	;; [unrolled: 2-line block ×3, first 2 shown]
	v_sub_f16_e64 v147, v180, v187
	v_fma_f16 v39, v39, 2.0, -v42
	v_fma_f16 v148, v40, 2.0, -v47
	;; [unrolled: 1-line block ×10, first 2 shown]
	v_sub_f16_e64 v141, v47, v141
	v_add_f16_e64 v49, v140, v49
	v_fma_f16 v154, v155, 2.0, -v142
	v_fma_f16 v46, v46, 2.0, -v50
	v_fma_f16 v155, v169, 2.0, -v143
	v_sub_f16_e64 v143, v48, v143
	v_add_f16_e64 v50, v142, v50
	v_fma_f16 v156, v156, 2.0, -v144
	v_fma_f16 v41, v41, 2.0, -v55
	;; [unrolled: 1-line block ×3, first 2 shown]
	v_sub_f16_e64 v151, v42, v138
	v_add_f16_e64 v44, v139, v44
	v_sub_f16_e64 v145, v52, v145
	v_add_f16_e64 v55, v144, v55
	v_fma_f16 v159, v37, 2.0, -v43
	v_fma_f16 v157, v157, 2.0, -v146
	v_fma_f16 v37, v51, 2.0, -v56
	v_fma_f16 v51, v180, 2.0, -v147
	v_sub_f16_e64 v38, v43, v147
	v_add_f16_e64 v138, v146, v56
	v_sub_f16_e32 v56, v39, v40
	v_sub_f16_e64 v147, v149, v150
	v_sub_f16_e64 v45, v148, v45
	;; [unrolled: 1-line block ×3, first 2 shown]
	v_fma_f16 v47, v47, 2.0, -v141
	v_fma_f16 v160, v140, 2.0, -v49
	v_sub_f16_e32 v46, v53, v46
	v_sub_f16_e64 v155, v154, v155
	v_fma_f16 v48, v48, 2.0, -v143
	v_fma_f16 v142, v142, 2.0, -v50
	v_sub_f16_e32 v41, v54, v41
	v_sub_f16_e64 v158, v156, v158
	v_fma_f16 v150, v139, 2.0, -v44
	v_fma_f16 v52, v52, 2.0, -v145
	;; [unrolled: 1-line block ×3, first 2 shown]
	v_sub_f16_e64 v37, v159, v37
	v_sub_f16_e64 v139, v157, v51
	v_fma_f16 v40, v43, 2.0, -v38
	v_pack_b32_f16 v43, v151, v44
	v_pack_b32_f16 v44, v141, v49
	;; [unrolled: 1-line block ×3, first 2 shown]
	v_fma_f16 v140, v146, 2.0, -v138
	v_pack_b32_f16 v50, v145, v55
	v_fma_f16 v55, v39, 2.0, -v56
	v_fma_f16 v143, v149, 2.0, -v147
	;; [unrolled: 1-line block ×4, first 2 shown]
	v_pack_b32_f16 v51, v38, v138
	v_fma_f16 v53, v53, 2.0, -v46
	v_fma_f16 v148, v154, 2.0, -v155
	;; [unrolled: 1-line block ×4, first 2 shown]
	v_pack_b32_f16 v47, v47, v160
	v_pack_b32_f16 v48, v48, v142
	v_fma_f16 v42, v42, 2.0, -v151
	v_fma_f16 v39, v159, 2.0, -v37
	;; [unrolled: 1-line block ×3, first 2 shown]
	v_pack_b32_f16 v56, v56, v147
	v_pack_b32_f16 v45, v45, v153
	;; [unrolled: 1-line block ×3, first 2 shown]
	ds_store_2addr_stride64_b32 v57, v44, v49 offset0:128 offset1:136
	v_pack_b32_f16 v44, v52, v144
	v_pack_b32_f16 v41, v41, v158
	;; [unrolled: 1-line block ×4, first 2 shown]
	ds_store_b32 v57, v50 offset:36864
	ds_store_b32 v57, v51 offset:38912
	v_pack_b32_f16 v50, v55, v143
	v_pack_b32_f16 v51, v145, v146
	;; [unrolled: 1-line block ×3, first 2 shown]
	ds_store_2addr_stride64_b32 v57, v47, v48 offset0:48 offset1:56
	ds_store_2addr_stride64_b32 v57, v45, v46 offset0:88 offset1:96
	v_pack_b32_f16 v45, v54, v149
	v_pack_b32_f16 v42, v42, v150
	ds_store_2addr_stride64_b32 v57, v44, v56 offset0:64 offset1:80
	v_pack_b32_f16 v44, v39, v141
	ds_store_2addr_stride64_b32 v57, v49, v41 offset0:72 offset1:104
	ds_store_2addr_stride64_b32 v57, v52, v43 offset0:112 offset1:120
	ds_store_2addr_stride64_b32 v57, v50, v51 offset1:8
	ds_store_2addr_stride64_b32 v57, v53, v45 offset0:16 offset1:24
	ds_store_2addr_stride64_b32 v57, v44, v42 offset0:32 offset1:40
	global_wb scope:SCOPE_SE
	s_wait_dscnt 0x0
	s_barrier_signal -1
	s_barrier_wait -1
	global_inv scope:SCOPE_SE
	s_clause 0xf
	global_load_b32 v142, v[30:31], off offset:40960
	global_load_b32 v143, v57, s[0:1] offset:2048
	global_load_b32 v144, v57, s[0:1] offset:5120
	;; [unrolled: 1-line block ×15, first 2 shown]
	ds_load_2addr_stride64_b32 v[41:42], v57 offset1:8
	ds_load_2addr_stride64_b32 v[43:44], v57 offset0:20 offset1:28
	ds_load_2addr_stride64_b32 v[45:46], v57 offset0:40 offset1:48
	;; [unrolled: 1-line block ×7, first 2 shown]
	s_wait_dscnt 0x7
	v_lshrrev_b32_e32 v158, 16, v41
	v_lshrrev_b32_e32 v159, 16, v42
	s_wait_dscnt 0x6
	v_lshrrev_b32_e32 v160, 16, v43
	v_lshrrev_b32_e32 v162, 16, v44
	s_wait_dscnt 0x5
	v_lshrrev_b32_e32 v161, 16, v45
	v_lshrrev_b32_e32 v164, 16, v46
	s_wait_dscnt 0x4
	v_lshrrev_b32_e32 v163, 16, v47
	v_lshrrev_b32_e32 v165, 16, v48
	s_wait_dscnt 0x3
	v_lshrrev_b32_e32 v166, 16, v49
	v_lshrrev_b32_e32 v167, 16, v50
	s_wait_dscnt 0x2
	v_lshrrev_b32_e32 v168, 16, v51
	v_lshrrev_b32_e32 v169, 16, v52
	s_wait_dscnt 0x1
	v_lshrrev_b32_e32 v170, 16, v53
	v_lshrrev_b32_e32 v171, 16, v54
	s_wait_dscnt 0x0
	v_lshrrev_b32_e32 v172, 16, v55
	v_lshrrev_b32_e32 v173, 16, v56
	s_wait_loadcnt 0xf
	v_lshrrev_b32_e32 v174, 16, v142
	s_wait_loadcnt 0xe
	v_lshrrev_b32_e32 v175, 16, v143
	;; [unrolled: 2-line block ×16, first 2 shown]
	v_mul_f16_e64 v190, v41, v174
	v_mul_f16_e64 v174, v158, v174
	;; [unrolled: 1-line block ×32, first 2 shown]
	v_fmac_f16_e64 v190, v158, v142
	v_fma_f16 v41, v41, v142, -v174
	v_fma_f16 v42, v42, v143, -v191
	v_fmac_f16_e64 v175, v159, v143
	v_fmac_f16_e64 v192, v160, v144
	v_fma_f16 v43, v43, v144, -v176
	v_fma_f16 v44, v44, v145, -v193
	v_fmac_f16_e64 v177, v162, v145
	v_fmac_f16_e64 v194, v161, v146
	v_fma_f16 v45, v45, v146, -v178
	v_fma_f16 v46, v46, v147, -v195
	v_fmac_f16_e64 v179, v164, v147
	v_fmac_f16_e64 v196, v163, v148
	v_fma_f16 v47, v47, v148, -v180
	v_fma_f16 v48, v48, v149, -v197
	v_fmac_f16_e64 v181, v165, v149
	v_fmac_f16_e64 v198, v166, v150
	v_fma_f16 v49, v49, v150, -v182
	v_fma_f16 v50, v50, v151, -v199
	v_fmac_f16_e64 v183, v167, v151
	v_fmac_f16_e64 v200, v168, v152
	v_fma_f16 v51, v51, v152, -v184
	v_fma_f16 v52, v52, v153, -v201
	v_fmac_f16_e64 v185, v169, v153
	v_fmac_f16_e64 v202, v170, v154
	v_fma_f16 v53, v53, v154, -v186
	v_fma_f16 v54, v54, v155, -v203
	v_fmac_f16_e64 v187, v171, v155
	v_fmac_f16_e64 v204, v172, v156
	v_fma_f16 v55, v55, v156, -v188
	v_fma_f16 v56, v56, v157, -v205
	v_fmac_f16_e64 v189, v173, v157
	v_pack_b32_f16 v41, v41, v190
	v_pack_b32_f16 v42, v42, v175
	;; [unrolled: 1-line block ×16, first 2 shown]
	ds_store_2addr_stride64_b32 v57, v41, v42 offset1:8
	ds_store_2addr_stride64_b32 v57, v43, v44 offset0:20 offset1:28
	ds_store_2addr_stride64_b32 v57, v45, v46 offset0:40 offset1:48
	;; [unrolled: 1-line block ×7, first 2 shown]
	s_and_saveexec_b32 s2, vcc_lo
	s_cbranch_execz .LBB0_9
; %bb.8:
	s_wait_alu 0xfffe
	v_add_co_u32 v41, s0, s0, v57
	s_wait_alu 0xf1ff
	v_add_co_ci_u32_e64 v42, null, s1, 0, s0
	s_clause 0x7
	global_load_b32 v49, v[41:42], off offset:4096
	global_load_b32 v50, v[41:42], off offset:9216
	;; [unrolled: 1-line block ×8, first 2 shown]
	ds_load_2addr_stride64_b32 v[41:42], v57 offset0:16 offset1:36
	ds_load_2addr_stride64_b32 v[43:44], v57 offset0:56 offset1:76
	;; [unrolled: 1-line block ×4, first 2 shown]
	s_wait_dscnt 0x3
	v_lshrrev_b32_e32 v142, 16, v41
	v_lshrrev_b32_e32 v143, 16, v42
	s_wait_dscnt 0x2
	v_lshrrev_b32_e32 v144, 16, v43
	v_lshrrev_b32_e32 v145, 16, v44
	;; [unrolled: 3-line block ×4, first 2 shown]
	s_wait_loadcnt 0x7
	v_lshrrev_b32_e32 v150, 16, v49
	s_wait_loadcnt 0x6
	v_lshrrev_b32_e32 v151, 16, v50
	;; [unrolled: 2-line block ×8, first 2 shown]
	v_mul_f16_e64 v158, v142, v150
	v_mul_f16_e64 v150, v41, v150
	;; [unrolled: 1-line block ×16, first 2 shown]
	v_fma_f16 v41, v41, v49, -v158
	v_fmac_f16_e64 v150, v142, v49
	v_fma_f16 v42, v42, v50, -v159
	v_fmac_f16_e64 v151, v143, v50
	;; [unrolled: 2-line block ×8, first 2 shown]
	v_pack_b32_f16 v41, v41, v150
	v_pack_b32_f16 v42, v42, v151
	;; [unrolled: 1-line block ×8, first 2 shown]
	ds_store_2addr_stride64_b32 v57, v41, v42 offset0:16 offset1:36
	ds_store_2addr_stride64_b32 v57, v43, v44 offset0:56 offset1:76
	;; [unrolled: 1-line block ×4, first 2 shown]
.LBB0_9:
	s_wait_alu 0xfffe
	s_or_b32 exec_lo, exec_lo, s2
	global_wb scope:SCOPE_SE
	s_wait_dscnt 0x0
	s_barrier_signal -1
	s_barrier_wait -1
	global_inv scope:SCOPE_SE
	ds_load_2addr_stride64_b32 v[45:46], v57 offset1:8
	ds_load_2addr_stride64_b32 v[43:44], v57 offset0:20 offset1:28
	ds_load_2addr_stride64_b32 v[41:42], v57 offset0:40 offset1:48
	;; [unrolled: 1-line block ×7, first 2 shown]
	v_lshrrev_b32_e32 v142, 16, v33
	s_and_saveexec_b32 s0, vcc_lo
	s_cbranch_execz .LBB0_11
; %bb.10:
	ds_load_2addr_stride64_b32 v[39:40], v57 offset0:16 offset1:36
	ds_load_2addr_stride64_b32 v[37:38], v57 offset0:56 offset1:76
	ds_load_2addr_stride64_b32 v[33:34], v57 offset0:96 offset1:116
	ds_load_2addr_stride64_b32 v[35:36], v57 offset0:136 offset1:156
	s_wait_dscnt 0x3
	v_lshrrev_b32_e32 v141, 16, v39
	v_lshrrev_b32_e32 v140, 16, v40
	s_wait_dscnt 0x2
	v_lshrrev_b32_e32 v139, 16, v37
	v_lshrrev_b32_e32 v138, 16, v38
	s_wait_dscnt 0x1
	v_lshrrev_b32_e32 v90, 16, v34
	s_wait_dscnt 0x0
	v_lshrrev_b32_e32 v142, 16, v35
	v_lshrrev_b32_e32 v94, 16, v36
	v_mov_b32_e32 v1, v33
.LBB0_11:
	s_wait_alu 0xfffe
	s_or_b32 exec_lo, exec_lo, s0
	s_wait_dscnt 0x1
	v_pk_add_f16 v53, v41, v53 neg_lo:[0,1] neg_hi:[0,1]
	s_wait_dscnt 0x0
	v_pk_add_f16 v143, v47, v51 neg_lo:[0,1] neg_hi:[0,1]
	v_pk_add_f16 v55, v45, v55 neg_lo:[0,1] neg_hi:[0,1]
	;; [unrolled: 1-line block ×4, first 2 shown]
	v_lshrrev_b32_e32 v49, 16, v53
	v_lshrrev_b32_e32 v51, 16, v143
	v_lshrrev_b32_e32 v145, 16, v55
	v_lshrrev_b32_e32 v146, 16, v144
	v_pk_add_f16 v54, v42, v54 neg_lo:[0,1] neg_hi:[0,1]
	v_add_f16_e64 v147, v55, v49
	v_add_f16_e64 v148, v144, v51
	v_sub_f16_e64 v149, v145, v53
	v_sub_f16_e64 v150, v146, v143
	v_pk_add_f16 v50, v44, v50 neg_lo:[0,1] neg_hi:[0,1]
	v_fma_f16 v151, v55, 2.0, -v147
	v_fma_f16 v152, v144, 2.0, -v148
	;; [unrolled: 1-line block ×4, first 2 shown]
	v_pk_add_f16 v52, v48, v52 neg_lo:[0,1] neg_hi:[0,1]
	v_lshrrev_b32_e32 v155, 16, v56
	v_fma_f16 v153, 0xb9a8, v152, v151
	v_fma_f16 v157, 0x39a8, v148, v147
	;; [unrolled: 1-line block ×3, first 2 shown]
	v_lshrrev_b32_e32 v156, 16, v52
	v_sub_f16_e64 v158, v155, v54
	v_fmac_f16_e64 v153, 0x39a8, v146
	v_lshrrev_b32_e32 v146, 16, v54
	v_fmac_f16_e64 v154, 0xb9a8, v152
	v_lshrrev_b32_e32 v152, 16, v50
	v_add_f16_e64 v156, v50, v156
	v_fma_f16 v162, 0x39a8, v150, v149
	v_add_f16_e64 v146, v56, v146
	v_fma_f16 v155, v155, 2.0, -v158
	v_sub_f16_e64 v159, v152, v52
	v_fma_f16 v161, v50, 2.0, -v156
	v_fmac_f16_e64 v157, 0x39a8, v150
	v_fma_f16 v160, v56, 2.0, -v146
	v_fmac_f16_e64 v162, 0xb9a8, v148
	v_fma_f16 v152, v152, 2.0, -v159
	v_pk_fma_f16 v43, v43, 2.0, v144 op_sel_hi:[1,0,1] neg_lo:[0,0,1] neg_hi:[0,0,1]
	v_pk_fma_f16 v47, v47, 2.0, v143 op_sel_hi:[1,0,1] neg_lo:[0,0,1] neg_hi:[0,0,1]
	v_fma_f16 v150, 0xb9a8, v161, v160
	v_pk_fma_f16 v45, v45, 2.0, v55 op_sel_hi:[1,0,1] neg_lo:[0,0,1] neg_hi:[0,0,1]
	v_fma_f16 v148, 0xb9a8, v152, v155
	v_pk_fma_f16 v41, v41, 2.0, v53 op_sel_hi:[1,0,1] neg_lo:[0,0,1] neg_hi:[0,0,1]
	v_pk_add_f16 v47, v43, v47 neg_lo:[0,1] neg_hi:[0,1]
	v_fmac_f16_e64 v150, 0x39a8, v152
	v_fma_f16 v152, 0x39a8, v156, v146
	v_fmac_f16_e64 v148, 0xb9a8, v161
	v_pk_add_f16 v143, v45, v41 neg_lo:[0,1] neg_hi:[0,1]
	v_lshrrev_b32_e32 v41, 16, v47
	v_pk_fma_f16 v46, v46, 2.0, v56 op_sel_hi:[1,0,1] neg_lo:[0,0,1] neg_hi:[0,0,1]
	v_fmac_f16_e64 v152, 0x39a8, v159
	v_fma_f16 v53, v155, 2.0, -v148
	v_lshrrev_b32_e32 v155, 16, v143
	v_pk_fma_f16 v44, v44, 2.0, v50 op_sel_hi:[1,0,1] neg_lo:[0,0,1] neg_hi:[0,0,1]
	v_pk_fma_f16 v48, v48, 2.0, v52 op_sel_hi:[1,0,1] neg_lo:[0,0,1] neg_hi:[0,0,1]
	;; [unrolled: 1-line block ×3, first 2 shown]
	v_fma_f16 v55, v146, 2.0, -v152
	v_pk_fma_f16 v45, v45, 2.0, v143 op_sel_hi:[1,0,1] neg_lo:[0,0,1] neg_hi:[0,0,1]
	v_pk_fma_f16 v43, v43, 2.0, v47 op_sel_hi:[1,0,1] neg_lo:[0,0,1] neg_hi:[0,0,1]
	v_add_f16_e64 v146, v143, v41
	v_sub_f16_e64 v50, v155, v47
	v_pk_add_f16 v52, v44, v48 neg_lo:[0,1] neg_hi:[0,1]
	v_pk_add_f16 v42, v46, v42 neg_lo:[0,1] neg_hi:[0,1]
	v_fma_f16 v147, v147, 2.0, -v157
	v_fma_f16 v149, v149, 2.0, -v162
	v_fma_f16 v161, 0x39a8, v159, v158
	v_pk_add_f16 v41, v45, v43 neg_lo:[0,1] neg_hi:[0,1]
	v_fma_f16 v43, v143, 2.0, -v146
	v_fma_f16 v47, v155, 2.0, -v50
	v_lshrrev_b32_e32 v54, 16, v52
	v_lshrrev_b32_e32 v56, 16, v42
	v_fma_f16 v151, v151, 2.0, -v153
	v_fma_f16 v145, v145, 2.0, -v154
	v_fmac_f16_e64 v161, 0xb9a8, v156
	v_pack_b32_f16 v48, v147, v149
	v_pack_b32_f16 v47, v43, v47
	v_pk_fma_f16 v143, v46, 2.0, v42 op_sel_hi:[1,0,1] neg_lo:[0,0,1] neg_hi:[0,0,1]
	v_pk_fma_f16 v43, v44, 2.0, v52 op_sel_hi:[1,0,1] neg_lo:[0,0,1] neg_hi:[0,0,1]
	v_add_f16_e32 v54, v42, v54
	v_sub_f16_e64 v147, v56, v52
	v_fma_f16 v160, v160, 2.0, -v150
	v_fma_f16 v144, v158, 2.0, -v161
	v_pack_b32_f16 v46, v151, v145
	v_pk_add_f16 v52, v143, v43 neg_lo:[0,1] neg_hi:[0,1]
	v_fma_f16 v145, v42, 2.0, -v54
	v_fma_f16 v56, v56, 2.0, -v147
	v_or_b32_e32 v33, 0x6800, v57
	v_or_b32_e32 v49, 0x4800, v57
	;; [unrolled: 1-line block ×3, first 2 shown]
	v_pk_fma_f16 v45, v45, 2.0, v41 op_sel_hi:[1,0,1] neg_lo:[0,0,1] neg_hi:[0,0,1]
	v_pack_b32_f16 v44, v157, v162
	v_pack_b32_f16 v43, v146, v50
	v_pack_b32_f16 v42, v153, v154
	v_pk_fma_f16 v143, v143, 2.0, v52 op_sel_hi:[1,0,1] neg_lo:[0,0,1] neg_hi:[0,0,1]
	v_pack_b32_f16 v146, v55, v144
	v_pack_b32_f16 v145, v145, v56
	;; [unrolled: 1-line block ×6, first 2 shown]
	global_wb scope:SCOPE_SE
	s_barrier_signal -1
	s_barrier_wait -1
	global_inv scope:SCOPE_SE
	ds_store_b128 v98, v[45:48]
	ds_store_b128 v98, v[41:44] offset:16
	ds_store_b128 v99, v[143:146]
	ds_store_b128 v99, v[52:55] offset:16
	s_and_saveexec_b32 s0, vcc_lo
	s_cbranch_execz .LBB0_13
; %bb.12:
	v_sub_f16_e32 v42, v39, v1
	v_lshrrev_b32_e32 v1, 16, v1
	v_sub_f16_e64 v41, v139, v142
	v_sub_f16_e64 v43, v140, v90
	;; [unrolled: 1-line block ×3, first 2 shown]
	v_sub_f16_e32 v34, v40, v34
	v_sub_f16_e64 v1, v141, v1
	v_sub_f16_e32 v35, v37, v35
	v_sub_f16_e32 v36, v38, v36
	v_add_f16_e32 v45, v41, v42
	v_add_f16_e32 v47, v44, v34
	v_fma_f16 v39, v39, 2.0, -v42
	v_sub_f16_e32 v48, v1, v35
	v_fma_f16 v35, v37, 2.0, -v35
	v_fma_f16 v37, v140, 2.0, -v43
	;; [unrolled: 1-line block ×3, first 2 shown]
	v_sub_f16_e32 v46, v43, v36
	v_fmamk_f16 v50, v47, 0x39a8, v45
	v_sub_f16_e32 v35, v39, v35
	v_fma_f16 v56, v141, 2.0, -v1
	v_sub_f16_e32 v44, v37, v44
	v_fma_f16 v41, v139, 2.0, -v41
	v_fma_f16 v40, v40, 2.0, -v34
	;; [unrolled: 1-line block ×3, first 2 shown]
	v_fmac_f16_e32 v50, 0x39a8, v46
	v_add_f16_e32 v53, v44, v35
	v_fma_f16 v38, v42, 2.0, -v45
	v_fma_f16 v42, v43, 2.0, -v46
	;; [unrolled: 1-line block ×4, first 2 shown]
	v_sub_f16_e32 v36, v40, v36
	v_sub_f16_e32 v41, v56, v41
	v_fmamk_f16 v52, v46, 0x39a8, v48
	v_fma_f16 v54, v45, 2.0, -v50
	v_fma_f16 v43, v35, 2.0, -v53
	v_fmamk_f16 v45, v34, 0xb9a8, v38
	v_fmamk_f16 v46, v42, 0xb9a8, v1
	v_fma_f16 v35, v39, 2.0, -v35
	v_fma_f16 v39, v40, 2.0, -v36
	;; [unrolled: 1-line block ×4, first 2 shown]
	v_fmac_f16_e32 v52, 0xb9a8, v47
	v_sub_f16_e32 v44, v41, v36
	v_fmac_f16_e32 v45, 0x39a8, v42
	v_fmac_f16_e32 v46, 0xb9a8, v34
	v_sub_f16_e32 v42, v35, v39
	v_sub_f16_e32 v47, v40, v37
	v_fma_f16 v55, v48, 2.0, -v52
	v_fma_f16 v34, v41, 2.0, -v44
	;; [unrolled: 1-line block ×6, first 2 shown]
	v_pack_b32_f16 v37, v54, v55
	v_pack_b32_f16 v36, v43, v34
	;; [unrolled: 1-line block ×8, first 2 shown]
	ds_store_b128 v91, v[34:37]
	ds_store_b128 v91, v[38:41] offset:16
.LBB0_13:
	s_wait_alu 0xfffe
	s_or_b32 exec_lo, exec_lo, s0
	global_wb scope:SCOPE_SE
	s_wait_dscnt 0x0
	s_barrier_signal -1
	s_barrier_wait -1
	global_inv scope:SCOPE_SE
	ds_load_2addr_stride64_b32 v[34:35], v57 offset1:8
	ds_load_2addr_stride64_b32 v[36:37], v57 offset0:32 offset1:40
	ds_load_2addr_stride64_b32 v[38:39], v57 offset0:64 offset1:80
	;; [unrolled: 1-line block ×7, first 2 shown]
	ds_load_b32 v1, v49
	ds_load_b32 v48, v51
	ds_load_b32 v50, v33
	ds_load_b32 v54, v57 offset:36864
	global_wb scope:SCOPE_SE
	s_wait_dscnt 0x0
	s_barrier_signal -1
	s_barrier_wait -1
	global_inv scope:SCOPE_SE
	s_mov_b32 s10, 0x9999999a
	s_mov_b32 s11, 0x3f199999
	v_lshrrev_b32_e32 v55, 16, v34
	v_lshrrev_b32_e32 v56, 16, v37
	;; [unrolled: 1-line block ×5, first 2 shown]
	v_mul_f16_e64 v150, v107, v37
	v_mul_f16_e64 v149, v107, v56
	;; [unrolled: 1-line block ×3, first 2 shown]
	v_lshrrev_b32_e32 v99, 16, v44
	v_lshrrev_b32_e32 v138, 16, v46
	;; [unrolled: 1-line block ×3, first 2 shown]
	v_fmac_f16_e64 v149, v6, v37
	v_fma_f16 v37, v6, v56, -v150
	v_fmac_f16_e64 v151, v7, v39
	v_mul_f16_e32 v39, v106, v39
	v_mul_f16_e32 v56, v105, v91
	v_mul_f16_e64 v150, v105, v41
	v_mul_f16_e64 v154, v107, v98
	;; [unrolled: 1-line block ×3, first 2 shown]
	v_lshrrev_b32_e32 v141, 16, v45
	v_lshrrev_b32_e32 v142, 16, v47
	v_fma_f16 v39, v7, v90, -v39
	v_fmac_f16_e32 v56, v8, v41
	v_fma_f16 v41, v8, v91, -v150
	v_fmac_f16_e64 v154, v6, v42
	v_fma_f16 v42, v6, v98, -v155
	v_mul_f16_e32 v90, v106, v99
	v_mul_f16_e32 v91, v106, v44
	v_mul_f16_e64 v98, v105, v138
	v_mul_f16_e64 v150, v105, v46
	;; [unrolled: 1-line block ×3, first 2 shown]
	v_lshrrev_b32_e32 v144, 16, v38
	v_lshrrev_b32_e32 v145, 16, v50
	v_fmac_f16_e32 v90, v7, v44
	v_fma_f16 v44, v7, v99, -v91
	v_fmac_f16_e32 v98, v8, v46
	v_fma_f16 v46, v8, v138, -v150
	v_fmac_f16_e64 v155, v6, v43
	v_mul_f16_e32 v43, v107, v43
	v_mul_f16_e64 v91, v106, v141
	v_mul_f16_e32 v99, v106, v45
	v_mul_f16_e64 v138, v105, v142
	v_mul_f16_e64 v150, v105, v47
	v_lshrrev_b32_e32 v148, 16, v1
	v_lshrrev_b32_e32 v152, 16, v40
	v_fma_f16 v43, v6, v140, -v43
	v_fmac_f16_e32 v91, v7, v45
	v_fma_f16 v45, v7, v141, -v99
	v_fmac_f16_e64 v138, v8, v47
	v_fma_f16 v47, v8, v142, -v150
	v_mul_f16_e64 v99, v107, v144
	v_mul_f16_e64 v140, v107, v38
	;; [unrolled: 1-line block ×4, first 2 shown]
	v_lshrrev_b32_e32 v146, 16, v54
	v_fmac_f16_e32 v99, v6, v38
	v_fma_f16 v38, v6, v144, -v140
	v_fmac_f16_e64 v141, v7, v50
	v_fma_f16 v50, v7, v145, -v142
	v_mul_f16_e64 v140, v107, v148
	v_mul_f16_e32 v107, v107, v1
	v_mul_f16_e64 v142, v106, v152
	v_mul_f16_e32 v106, v106, v40
	v_mul_f16_e64 v150, v105, v146
	v_lshrrev_b32_e32 v153, 16, v48
	v_fmac_f16_e64 v140, v6, v1
	v_fma_f16 v1, v6, v148, -v107
	v_fmac_f16_e64 v142, v7, v40
	v_fma_f16 v6, v7, v152, -v106
	v_sub_f16_e64 v7, v34, v151
	v_sub_f16_e64 v56, v149, v56
	v_lshrrev_b32_e32 v139, 16, v52
	v_fmac_f16_e64 v150, v8, v54
	v_mul_f16_e32 v54, v105, v54
	v_lshrrev_b32_e32 v94, 16, v35
	v_mul_f16_e64 v40, v105, v153
	v_mul_f16_e32 v105, v105, v48
	v_sub_f16_e32 v39, v55, v39
	v_fma_f16 v34, v34, 2.0, -v7
	v_fma_f16 v106, v149, 2.0, -v56
	v_sub_f16_e32 v41, v37, v41
	v_lshrrev_b32_e32 v143, 16, v53
	v_fma_f16 v54, v8, v146, -v54
	v_sub_f16_e64 v45, v139, v45
	v_sub_f16_e32 v90, v35, v90
	v_sub_f16_e32 v44, v94, v44
	v_sub_f16_e64 v98, v154, v98
	v_sub_f16_e32 v46, v42, v46
	v_lshrrev_b32_e32 v147, 16, v36
	v_fmac_f16_e32 v40, v8, v48
	v_fma_f16 v8, v8, v153, -v105
	v_fma_f16 v48, v55, 2.0, -v39
	v_sub_f16_e32 v55, v34, v106
	v_sub_f16_e32 v91, v52, v91
	v_sub_f16_e64 v106, v155, v138
	v_sub_f16_e32 v47, v43, v47
	v_fma_f16 v37, v37, 2.0, -v41
	v_fma_f16 v138, v139, 2.0, -v45
	v_sub_f16_e64 v139, v53, v141
	v_sub_f16_e64 v141, v99, v150
	;; [unrolled: 1-line block ×3, first 2 shown]
	v_sub_f16_e32 v54, v38, v54
	v_fma_f16 v35, v35, 2.0, -v90
	v_fma_f16 v94, v94, 2.0, -v44
	;; [unrolled: 1-line block ×4, first 2 shown]
	v_sub_f16_e64 v142, v36, v142
	v_sub_f16_e64 v6, v147, v6
	;; [unrolled: 1-line block ×3, first 2 shown]
	v_sub_f16_e32 v8, v1, v8
	v_fma_f16 v52, v52, 2.0, -v91
	v_fma_f16 v107, v155, 2.0, -v106
	;; [unrolled: 1-line block ×3, first 2 shown]
	v_sub_f16_e32 v37, v48, v37
	v_add_f16_e32 v41, v7, v41
	v_sub_f16_e32 v56, v39, v56
	v_fma_f16 v53, v53, 2.0, -v139
	v_fma_f16 v99, v99, 2.0, -v141
	;; [unrolled: 1-line block ×4, first 2 shown]
	v_sub_f16_e32 v105, v35, v105
	v_sub_f16_e32 v42, v94, v42
	v_add_f16_e32 v46, v90, v46
	v_sub_f16_e32 v98, v44, v98
	v_fma_f16 v36, v36, 2.0, -v142
	v_fma_f16 v144, v147, 2.0, -v6
	;; [unrolled: 1-line block ×4, first 2 shown]
	v_sub_f16_e32 v107, v52, v107
	v_sub_f16_e64 v43, v138, v43
	v_add_f16_e32 v47, v91, v47
	v_sub_f16_e32 v106, v45, v106
	v_fma_f16 v34, v34, 2.0, -v55
	v_fma_f16 v48, v48, 2.0, -v37
	;; [unrolled: 1-line block ×4, first 2 shown]
	v_sub_f16_e32 v99, v53, v99
	v_sub_f16_e64 v38, v143, v38
	v_add_f16_e64 v54, v139, v54
	v_sub_f16_e64 v141, v50, v141
	v_fma_f16 v35, v35, 2.0, -v105
	v_fma_f16 v94, v94, 2.0, -v42
	v_fma_f16 v90, v90, 2.0, -v46
	v_fma_f16 v44, v44, 2.0, -v98
	v_sub_f16_e64 v140, v36, v140
	v_sub_f16_e64 v1, v144, v1
	v_add_f16_e64 v8, v142, v8
	v_sub_f16_e32 v40, v6, v40
	v_fma_f16 v52, v52, 2.0, -v107
	v_fma_f16 v138, v138, 2.0, -v43
	;; [unrolled: 1-line block ×4, first 2 shown]
	v_pack_b32_f16 v34, v34, v48
	v_pack_b32_f16 v7, v7, v39
	v_fma_f16 v53, v53, 2.0, -v99
	v_fma_f16 v143, v143, 2.0, -v38
	;; [unrolled: 1-line block ×4, first 2 shown]
	v_pack_b32_f16 v37, v55, v37
	v_pack_b32_f16 v39, v41, v56
	;; [unrolled: 1-line block ×4, first 2 shown]
	v_fma_f16 v36, v36, 2.0, -v140
	v_fma_f16 v144, v144, 2.0, -v1
	;; [unrolled: 1-line block ×4, first 2 shown]
	v_pack_b32_f16 v42, v105, v42
	v_pack_b32_f16 v44, v46, v98
	;; [unrolled: 1-line block ×4, first 2 shown]
	ds_store_2addr_b32 v97, v34, v7 offset1:8
	ds_store_2addr_b32 v97, v37, v39 offset0:16 offset1:24
	ds_store_2addr_b32 v96, v35, v41 offset1:8
	ds_store_2addr_b32 v96, v42, v44 offset0:16 offset1:24
	ds_store_2addr_b32 v95, v46, v45 offset1:8
	v_pack_b32_f16 v7, v107, v43
	v_pack_b32_f16 v34, v47, v106
	;; [unrolled: 1-line block ×10, first 2 shown]
	ds_store_2addr_b32 v95, v7, v34 offset0:16 offset1:24
	ds_store_2addr_b32 v93, v35, v37 offset1:8
	ds_store_2addr_b32 v93, v38, v39 offset0:16 offset1:24
	ds_store_2addr_b32 v92, v36, v6 offset1:8
	ds_store_2addr_b32 v92, v1, v8 offset0:16 offset1:24
	global_wb scope:SCOPE_SE
	s_wait_dscnt 0x0
	s_barrier_signal -1
	s_barrier_wait -1
	global_inv scope:SCOPE_SE
	ds_load_2addr_stride64_b32 v[6:7], v57 offset1:8
	ds_load_2addr_stride64_b32 v[34:35], v57 offset0:32 offset1:40
	ds_load_2addr_stride64_b32 v[36:37], v57 offset0:64 offset1:80
	;; [unrolled: 1-line block ×7, first 2 shown]
	ds_load_b32 v1, v49
	ds_load_b32 v8, v51
	;; [unrolled: 1-line block ×3, first 2 shown]
	ds_load_b32 v50, v57 offset:36864
	global_wb scope:SCOPE_SE
	s_wait_dscnt 0x0
	s_barrier_signal -1
	s_barrier_wait -1
	global_inv scope:SCOPE_SE
	v_lshrrev_b32_e32 v52, 16, v6
	v_lshrrev_b32_e32 v53, 16, v35
	;; [unrolled: 1-line block ×5, first 2 shown]
	v_mul_f16_e64 v139, v115, v35
	v_mul_f16_e64 v138, v115, v53
	;; [unrolled: 1-line block ×3, first 2 shown]
	v_lshrrev_b32_e32 v91, 16, v42
	v_lshrrev_b32_e32 v92, 16, v44
	;; [unrolled: 1-line block ×3, first 2 shown]
	v_fmac_f16_e64 v138, v9, v35
	v_fma_f16 v35, v9, v53, -v139
	v_fmac_f16_e64 v140, v10, v37
	v_mul_f16_e32 v37, v114, v37
	v_mul_f16_e32 v53, v113, v55
	v_mul_f16_e64 v139, v113, v39
	v_mul_f16_e64 v143, v115, v90
	v_mul_f16_e64 v144, v115, v40
	v_lshrrev_b32_e32 v95, 16, v43
	v_lshrrev_b32_e32 v96, 16, v45
	v_fma_f16 v37, v10, v54, -v37
	v_fmac_f16_e32 v53, v11, v39
	v_fma_f16 v39, v11, v55, -v139
	v_fmac_f16_e64 v143, v9, v40
	v_fma_f16 v40, v9, v90, -v144
	v_mul_f16_e32 v54, v114, v91
	v_mul_f16_e32 v55, v114, v42
	;; [unrolled: 1-line block ×3, first 2 shown]
	v_mul_f16_e64 v139, v113, v44
	v_mul_f16_e64 v144, v115, v94
	v_lshrrev_b32_e32 v98, 16, v36
	v_lshrrev_b32_e32 v99, 16, v48
	v_fmac_f16_e32 v54, v10, v42
	v_fma_f16 v42, v10, v91, -v55
	v_fmac_f16_e32 v90, v11, v44
	v_fma_f16 v44, v11, v92, -v139
	v_fmac_f16_e64 v144, v9, v41
	v_mul_f16_e32 v41, v115, v41
	v_mul_f16_e32 v55, v114, v95
	;; [unrolled: 1-line block ×4, first 2 shown]
	v_mul_f16_e64 v139, v113, v45
	v_lshrrev_b32_e32 v105, 16, v50
	v_lshrrev_b32_e32 v107, 16, v1
	;; [unrolled: 1-line block ×3, first 2 shown]
	v_fma_f16 v41, v9, v94, -v41
	v_fmac_f16_e32 v55, v10, v43
	v_fma_f16 v43, v10, v95, -v91
	v_fmac_f16_e32 v92, v11, v45
	v_fma_f16 v45, v11, v96, -v139
	v_mul_f16_e32 v91, v115, v98
	v_mul_f16_e32 v94, v115, v36
	;; [unrolled: 1-line block ×4, first 2 shown]
	v_mul_f16_e64 v139, v113, v105
	v_lshrrev_b32_e32 v142, 16, v8
	v_fmac_f16_e32 v91, v9, v36
	v_fma_f16 v36, v9, v98, -v94
	v_fmac_f16_e32 v95, v10, v48
	v_fma_f16 v48, v10, v99, -v96
	v_mul_f16_e32 v94, v115, v107
	v_mul_f16_e32 v96, v115, v1
	v_mul_f16_e64 v98, v114, v141
	v_mul_f16_e32 v99, v114, v38
	v_fmac_f16_e64 v139, v11, v50
	v_mul_f16_e32 v50, v113, v50
	v_lshrrev_b32_e32 v56, 16, v7
	v_fmac_f16_e32 v94, v9, v1
	v_fma_f16 v1, v9, v107, -v96
	v_fmac_f16_e32 v98, v10, v38
	v_mul_f16_e64 v38, v113, v142
	v_mul_f16_e32 v96, v113, v8
	v_lshrrev_b32_e32 v93, 16, v46
	v_fma_f16 v9, v10, v141, -v99
	v_sub_f16_e64 v10, v6, v140
	v_sub_f16_e64 v53, v138, v53
	v_sub_f16_e32 v37, v52, v37
	v_sub_f16_e32 v39, v35, v39
	v_lshrrev_b32_e32 v97, 16, v47
	v_fma_f16 v50, v11, v105, -v50
	v_sub_f16_e32 v54, v7, v54
	v_sub_f16_e32 v42, v56, v42
	v_sub_f16_e64 v90, v143, v90
	v_sub_f16_e32 v44, v40, v44
	v_lshrrev_b32_e32 v106, 16, v34
	v_fmac_f16_e32 v38, v11, v8
	v_fma_f16 v8, v11, v142, -v96
	v_fma_f16 v6, v6, 2.0, -v10
	v_fma_f16 v99, v138, 2.0, -v53
	v_sub_f16_e32 v55, v46, v55
	v_sub_f16_e64 v92, v144, v92
	v_sub_f16_e32 v43, v93, v43
	v_sub_f16_e32 v45, v41, v45
	v_fma_f16 v11, v52, 2.0, -v37
	v_fma_f16 v35, v35, 2.0, -v39
	v_sub_f16_e32 v95, v47, v95
	v_sub_f16_e64 v105, v91, v139
	v_sub_f16_e32 v48, v97, v48
	v_sub_f16_e32 v50, v36, v50
	v_fma_f16 v7, v7, 2.0, -v54
	v_fma_f16 v56, v56, 2.0, -v42
	;; [unrolled: 1-line block ×4, first 2 shown]
	v_sub_f16_e32 v98, v34, v98
	v_sub_f16_e32 v9, v106, v9
	v_sub_f16_e32 v38, v94, v38
	v_sub_f16_e32 v8, v1, v8
	v_sub_f16_e32 v52, v6, v99
	v_fma_f16 v46, v46, 2.0, -v55
	v_fma_f16 v99, v144, 2.0, -v92
	;; [unrolled: 1-line block ×4, first 2 shown]
	v_sub_f16_e32 v35, v11, v35
	v_add_f16_e32 v39, v10, v39
	v_sub_f16_e32 v53, v37, v53
	v_fma_f16 v47, v47, 2.0, -v95
	v_fma_f16 v91, v91, 2.0, -v105
	v_fma_f16 v97, v97, 2.0, -v48
	v_fma_f16 v36, v36, 2.0, -v50
	v_sub_f16_e32 v96, v7, v96
	v_sub_f16_e32 v40, v56, v40
	v_add_f16_e32 v44, v54, v44
	v_sub_f16_e32 v90, v42, v90
	v_fma_f16 v34, v34, 2.0, -v98
	v_fma_f16 v106, v106, 2.0, -v9
	v_fma_f16 v94, v94, 2.0, -v38
	v_fma_f16 v1, v1, 2.0, -v8
	v_sub_f16_e32 v99, v46, v99
	;; [unrolled: 8-line block ×4, first 2 shown]
	v_sub_f16_e32 v1, v106, v1
	v_add_f16_e32 v8, v98, v8
	v_sub_f16_e32 v38, v9, v38
	v_fma_f16 v46, v46, 2.0, -v99
	v_fma_f16 v93, v93, 2.0, -v41
	;; [unrolled: 1-line block ×4, first 2 shown]
	v_pack_b32_f16 v6, v6, v11
	v_pack_b32_f16 v10, v10, v37
	v_fma_f16 v47, v47, 2.0, -v91
	v_fma_f16 v97, v97, 2.0, -v36
	;; [unrolled: 1-line block ×4, first 2 shown]
	v_pack_b32_f16 v11, v52, v35
	v_pack_b32_f16 v35, v39, v53
	;; [unrolled: 1-line block ×4, first 2 shown]
	v_fma_f16 v34, v34, 2.0, -v94
	v_fma_f16 v106, v106, 2.0, -v1
	;; [unrolled: 1-line block ×4, first 2 shown]
	v_pack_b32_f16 v39, v96, v40
	v_pack_b32_f16 v40, v44, v90
	;; [unrolled: 1-line block ×4, first 2 shown]
	ds_store_2addr_b32 v103, v6, v10 offset1:32
	ds_store_2addr_b32 v103, v11, v35 offset0:64 offset1:96
	ds_store_2addr_b32 v104, v7, v37 offset1:32
	ds_store_2addr_b32 v104, v39, v40 offset0:64 offset1:96
	ds_store_2addr_b32 v102, v42, v43 offset1:32
	v_pack_b32_f16 v6, v99, v41
	v_pack_b32_f16 v7, v45, v92
	;; [unrolled: 1-line block ×10, first 2 shown]
	ds_store_2addr_b32 v102, v6, v7 offset0:64 offset1:96
	ds_store_2addr_b32 v101, v10, v11 offset1:32
	ds_store_2addr_b32 v101, v35, v36 offset0:64 offset1:96
	ds_store_2addr_b32 v100, v34, v9 offset1:32
	ds_store_2addr_b32 v100, v1, v8 offset0:64 offset1:96
	global_wb scope:SCOPE_SE
	s_wait_dscnt 0x0
	s_barrier_signal -1
	s_barrier_wait -1
	global_inv scope:SCOPE_SE
	ds_load_2addr_stride64_b32 v[6:7], v57 offset1:8
	ds_load_2addr_stride64_b32 v[8:9], v57 offset0:32 offset1:40
	ds_load_2addr_stride64_b32 v[10:11], v57 offset0:64 offset1:80
	;; [unrolled: 1-line block ×7, first 2 shown]
	ds_load_b32 v1, v49
	ds_load_b32 v44, v51
	ds_load_b32 v45, v33
	ds_load_b32 v46, v57 offset:36864
	global_wb scope:SCOPE_SE
	s_wait_dscnt 0x0
	s_barrier_signal -1
	s_barrier_wait -1
	global_inv scope:SCOPE_SE
	v_lshrrev_b32_e32 v47, 16, v6
	v_lshrrev_b32_e32 v48, 16, v9
	;; [unrolled: 1-line block ×5, first 2 shown]
	v_mul_f16_e32 v101, v118, v9
	v_mul_f16_e32 v100, v118, v48
	;; [unrolled: 1-line block ×3, first 2 shown]
	v_lshrrev_b32_e32 v55, 16, v38
	v_lshrrev_b32_e32 v56, 16, v40
	v_lshrrev_b32_e32 v91, 16, v37
	v_fmac_f16_e32 v100, v12, v9
	v_fma_f16 v9, v12, v48, -v101
	v_fmac_f16_e32 v102, v13, v11
	v_mul_f16_e32 v11, v117, v11
	v_mul_f16_e32 v48, v116, v52
	v_mul_f16_e32 v101, v116, v35
	v_mul_f16_e32 v105, v118, v54
	v_mul_f16_e32 v106, v118, v36
	v_lshrrev_b32_e32 v92, 16, v39
	v_lshrrev_b32_e32 v93, 16, v41
	v_fma_f16 v11, v13, v50, -v11
	v_fmac_f16_e32 v48, v14, v35
	v_fma_f16 v35, v14, v52, -v101
	v_fmac_f16_e32 v105, v12, v36
	v_fma_f16 v36, v12, v54, -v106
	v_mul_f16_e32 v50, v117, v55
	v_mul_f16_e32 v52, v117, v38
	;; [unrolled: 1-line block ×5, first 2 shown]
	v_lshrrev_b32_e32 v95, 16, v10
	v_lshrrev_b32_e32 v96, 16, v45
	v_fmac_f16_e32 v50, v13, v38
	v_fma_f16 v38, v13, v55, -v52
	v_fmac_f16_e32 v54, v14, v40
	v_fma_f16 v40, v14, v56, -v101
	v_fmac_f16_e32 v106, v12, v37
	v_mul_f16_e32 v37, v118, v37
	v_mul_f16_e32 v52, v117, v92
	;; [unrolled: 1-line block ×5, first 2 shown]
	v_lshrrev_b32_e32 v97, 16, v46
	v_lshrrev_b32_e32 v99, 16, v1
	;; [unrolled: 1-line block ×3, first 2 shown]
	v_fma_f16 v37, v12, v91, -v37
	v_fmac_f16_e32 v52, v13, v39
	v_fma_f16 v39, v13, v92, -v55
	v_fmac_f16_e32 v56, v14, v41
	v_fma_f16 v41, v14, v93, -v101
	v_mul_f16_e32 v55, v118, v95
	v_mul_f16_e32 v91, v118, v10
	;; [unrolled: 1-line block ×5, first 2 shown]
	v_lshrrev_b32_e32 v104, 16, v44
	v_fmac_f16_e32 v55, v12, v10
	v_fma_f16 v10, v12, v95, -v91
	v_fmac_f16_e32 v92, v13, v45
	v_fma_f16 v45, v13, v96, -v93
	v_mul_f16_e32 v91, v118, v99
	v_mul_f16_e32 v93, v118, v1
	;; [unrolled: 1-line block ×4, first 2 shown]
	v_fmac_f16_e32 v101, v14, v46
	v_mul_f16_e32 v46, v116, v46
	v_lshrrev_b32_e32 v53, 16, v7
	v_fmac_f16_e32 v91, v12, v1
	v_fma_f16 v1, v12, v99, -v93
	v_fmac_f16_e32 v95, v13, v34
	v_mul_f16_e32 v34, v116, v104
	v_mul_f16_e32 v93, v116, v44
	v_lshrrev_b32_e32 v90, 16, v42
	v_fma_f16 v12, v13, v103, -v96
	v_sub_f16_e32 v13, v6, v102
	v_sub_f16_e32 v48, v100, v48
	;; [unrolled: 1-line block ×4, first 2 shown]
	v_lshrrev_b32_e32 v94, 16, v43
	v_fma_f16 v46, v14, v97, -v46
	v_sub_f16_e32 v50, v7, v50
	v_sub_f16_e32 v38, v53, v38
	v_sub_f16_e32 v54, v105, v54
	v_sub_f16_e32 v40, v36, v40
	v_lshrrev_b32_e32 v98, 16, v8
	v_fmac_f16_e32 v34, v14, v44
	v_fma_f16 v14, v14, v104, -v93
	v_fma_f16 v6, v6, 2.0, -v13
	v_fma_f16 v96, v100, 2.0, -v48
	v_sub_f16_e32 v52, v42, v52
	v_sub_f16_e32 v56, v106, v56
	;; [unrolled: 1-line block ×4, first 2 shown]
	v_fma_f16 v44, v47, 2.0, -v11
	v_fma_f16 v9, v9, 2.0, -v35
	v_sub_f16_e32 v92, v43, v92
	v_sub_f16_e32 v97, v55, v101
	;; [unrolled: 1-line block ×4, first 2 shown]
	v_fma_f16 v7, v7, 2.0, -v50
	v_fma_f16 v53, v53, 2.0, -v38
	;; [unrolled: 1-line block ×4, first 2 shown]
	v_sub_f16_e32 v95, v8, v95
	v_sub_f16_e32 v12, v98, v12
	;; [unrolled: 1-line block ×5, first 2 shown]
	v_fma_f16 v42, v42, 2.0, -v52
	v_fma_f16 v96, v106, 2.0, -v56
	;; [unrolled: 1-line block ×4, first 2 shown]
	v_sub_f16_e32 v9, v44, v9
	v_add_f16_e32 v35, v13, v35
	v_sub_f16_e32 v48, v11, v48
	v_fma_f16 v43, v43, 2.0, -v92
	v_fma_f16 v55, v55, 2.0, -v97
	v_fma_f16 v94, v94, 2.0, -v45
	v_fma_f16 v10, v10, 2.0, -v46
	v_sub_f16_e32 v93, v7, v93
	v_sub_f16_e32 v36, v53, v36
	v_add_f16_e32 v40, v50, v40
	v_sub_f16_e32 v54, v38, v54
	v_fma_f16 v8, v8, 2.0, -v95
	v_fma_f16 v98, v98, 2.0, -v12
	v_fma_f16 v91, v91, 2.0, -v34
	v_fma_f16 v1, v1, 2.0, -v14
	v_sub_f16_e32 v96, v42, v96
	;; [unrolled: 8-line block ×4, first 2 shown]
	v_sub_f16_e32 v1, v98, v1
	v_add_f16_e32 v14, v95, v14
	v_sub_f16_e32 v34, v12, v34
	v_fma_f16 v42, v42, 2.0, -v96
	v_fma_f16 v90, v90, 2.0, -v37
	;; [unrolled: 1-line block ×4, first 2 shown]
	v_pack_b32_f16 v6, v6, v44
	v_pack_b32_f16 v11, v13, v11
	v_fma_f16 v43, v43, 2.0, -v55
	v_fma_f16 v94, v94, 2.0, -v10
	;; [unrolled: 1-line block ×4, first 2 shown]
	v_pack_b32_f16 v9, v47, v9
	v_pack_b32_f16 v13, v35, v48
	;; [unrolled: 1-line block ×4, first 2 shown]
	v_fma_f16 v8, v8, 2.0, -v91
	v_fma_f16 v98, v98, 2.0, -v1
	;; [unrolled: 1-line block ×4, first 2 shown]
	v_pack_b32_f16 v36, v93, v36
	v_pack_b32_f16 v38, v40, v54
	;; [unrolled: 1-line block ×4, first 2 shown]
	ds_store_2addr_stride64_b32 v111, v6, v11 offset1:2
	ds_store_2addr_stride64_b32 v111, v9, v13 offset0:4 offset1:6
	ds_store_2addr_stride64_b32 v112, v7, v35 offset1:2
	ds_store_2addr_stride64_b32 v112, v36, v38 offset0:4 offset1:6
	ds_store_2addr_stride64_b32 v110, v40, v39 offset1:2
	v_pack_b32_f16 v6, v96, v37
	v_pack_b32_f16 v7, v41, v56
	;; [unrolled: 1-line block ×10, first 2 shown]
	ds_store_2addr_stride64_b32 v110, v6, v7 offset0:4 offset1:6
	ds_store_2addr_stride64_b32 v109, v9, v11 offset1:2
	ds_store_2addr_stride64_b32 v109, v10, v13 offset0:4 offset1:6
	ds_store_2addr_stride64_b32 v108, v8, v12 offset1:2
	ds_store_2addr_stride64_b32 v108, v1, v14 offset0:4 offset1:6
	global_wb scope:SCOPE_SE
	s_wait_dscnt 0x0
	s_barrier_signal -1
	s_barrier_wait -1
	global_inv scope:SCOPE_SE
	ds_load_2addr_stride64_b32 v[6:7], v57 offset1:8
	ds_load_2addr_stride64_b32 v[13:14], v57 offset0:32 offset1:40
	ds_load_2addr_stride64_b32 v[34:35], v57 offset0:64 offset1:80
	ds_load_2addr_stride64_b32 v[36:37], v57 offset0:88 offset1:96
	ds_load_2addr_stride64_b32 v[38:39], v57 offset0:128 offset1:136
	ds_load_b32 v44, v51
	ds_load_b32 v45, v49
	;; [unrolled: 1-line block ×3, first 2 shown]
	ds_load_2addr_stride64_b32 v[8:9], v57 offset0:16 offset1:24
	ds_load_2addr_stride64_b32 v[40:41], v57 offset0:48 offset1:56
	;; [unrolled: 1-line block ×3, first 2 shown]
	ds_load_b32 v47, v57 offset:36864
	global_wb scope:SCOPE_SE
	s_wait_dscnt 0x0
	s_barrier_signal -1
	s_barrier_wait -1
	global_inv scope:SCOPE_SE
	v_lshrrev_b32_e32 v12, 16, v6
	v_lshrrev_b32_e32 v48, 16, v13
	;; [unrolled: 1-line block ×5, first 2 shown]
	v_mul_f16_e32 v98, v122, v13
	v_mul_f16_e32 v97, v122, v48
	;; [unrolled: 1-line block ×3, first 2 shown]
	v_lshrrev_b32_e32 v54, 16, v14
	v_lshrrev_b32_e32 v56, 16, v46
	v_mul_f16_e32 v102, v119, v53
	v_fmac_f16_e32 v97, v2, v13
	v_fma_f16 v13, v2, v48, -v98
	v_fmac_f16_e32 v99, v3, v34
	v_mul_f16_e32 v34, v121, v34
	v_mul_f16_e32 v48, v120, v52
	v_mul_f16_e32 v98, v120, v37
	v_mul_f16_e32 v103, v119, v38
	v_lshrrev_b32_e32 v55, 16, v45
	v_lshrrev_b32_e32 v90, 16, v39
	v_fma_f16 v34, v3, v50, -v34
	v_fmac_f16_e32 v48, v4, v37
	v_fma_f16 v37, v4, v52, -v98
	v_fmac_f16_e32 v102, v5, v38
	v_fma_f16 v38, v5, v53, -v103
	v_mul_f16_e32 v50, v122, v54
	v_mul_f16_e32 v52, v122, v14
	;; [unrolled: 1-line block ×3, first 2 shown]
	v_lshrrev_b32_e32 v91, 16, v40
	v_lshrrev_b32_e32 v92, 16, v35
	v_mul_f16_e32 v53, v121, v55
	v_mul_f16_e32 v98, v121, v45
	v_fmac_f16_e32 v50, v2, v14
	v_fma_f16 v14, v2, v54, -v52
	v_fmac_f16_e32 v103, v4, v46
	v_mul_f16_e32 v46, v120, v46
	v_mul_f16_e32 v52, v119, v90
	;; [unrolled: 1-line block ×3, first 2 shown]
	v_lshrrev_b32_e32 v93, 16, v42
	v_lshrrev_b32_e32 v94, 16, v47
	v_lshrrev_b32_e32 v96, 16, v36
	v_fmac_f16_e32 v53, v3, v45
	v_fma_f16 v45, v3, v55, -v98
	v_mul_f16_e32 v55, v122, v91
	v_mul_f16_e32 v98, v122, v40
	v_fma_f16 v46, v4, v56, -v46
	v_fmac_f16_e32 v52, v5, v39
	v_fma_f16 v39, v5, v90, -v54
	v_mul_f16_e32 v54, v121, v92
	v_mul_f16_e32 v56, v121, v35
	v_lshrrev_b32_e32 v95, 16, v41
	v_fmac_f16_e32 v55, v2, v40
	v_fma_f16 v40, v2, v91, -v98
	v_mul_f16_e32 v90, v120, v93
	v_mul_f16_e32 v91, v120, v42
	;; [unrolled: 1-line block ×3, first 2 shown]
	v_fmac_f16_e32 v54, v3, v35
	v_fma_f16 v35, v3, v92, -v56
	v_mul_f16_e32 v92, v121, v96
	v_lshrrev_b32_e32 v100, 16, v43
	v_lshrrev_b32_e32 v101, 16, v44
	v_fmac_f16_e32 v90, v4, v42
	v_fma_f16 v42, v4, v93, -v91
	v_fmac_f16_e32 v98, v5, v47
	v_mul_f16_e32 v47, v119, v47
	v_mul_f16_e32 v56, v122, v95
	v_mul_f16_e32 v91, v122, v41
	v_mul_f16_e32 v93, v121, v36
	v_fmac_f16_e32 v92, v3, v36
	v_add_f16_e32 v36, v99, v48
	v_fma_f16 v47, v5, v94, -v47
	v_fmac_f16_e32 v56, v2, v41
	v_fma_f16 v2, v2, v95, -v91
	v_fma_f16 v3, v3, v96, -v93
	v_mul_f16_e32 v41, v120, v100
	v_mul_f16_e32 v91, v120, v43
	;; [unrolled: 1-line block ×3, first 2 shown]
	v_add_f16_e32 v94, v6, v97
	v_fma_f16 v36, -0.5, v36, v6
	v_sub_f16_e32 v95, v13, v38
	v_fmac_f16_e32 v41, v4, v43
	v_fma_f16 v4, v4, v100, -v91
	v_fmac_f16_e32 v93, v5, v44
	v_add_f16_e32 v43, v94, v99
	v_fmamk_f16 v91, v95, 0xbb9c, v36
	v_sub_f16_e32 v94, v34, v37
	v_sub_f16_e32 v96, v97, v99
	;; [unrolled: 1-line block ×3, first 2 shown]
	v_add_f16_e32 v104, v97, v102
	v_mul_f16_e32 v44, v119, v44
	v_fmac_f16_e32 v36, 0x3b9c, v95
	v_fmac_f16_e32 v91, 0xb8b4, v94
	v_add_f16_e32 v96, v96, v100
	v_fma_f16 v6, -0.5, v104, v6
	v_fma_f16 v5, v5, v101, -v44
	v_sub_f16_e32 v100, v99, v97
	v_sub_f16_e32 v101, v48, v102
	v_fmac_f16_e32 v36, 0x38b4, v94
	v_add_f16_e32 v104, v12, v13
	v_add_f16_e32 v105, v34, v37
	v_add_f16_e32 v43, v43, v48
	v_fmac_f16_e32 v91, 0x34f2, v96
	v_fmamk_f16 v44, v94, 0x3b9c, v6
	v_add_f16_e32 v100, v100, v101
	v_fmac_f16_e32 v6, 0xbb9c, v94
	v_add_f16_e32 v94, v104, v34
	v_fma_f16 v101, -0.5, v105, v12
	v_sub_f16_e32 v97, v97, v102
	v_fmac_f16_e32 v36, 0x34f2, v96
	v_add_f16_e32 v96, v13, v38
	v_sub_f16_e32 v48, v99, v48
	v_sub_f16_e32 v99, v13, v34
	v_sub_f16_e32 v13, v34, v13
	v_sub_f16_e32 v34, v37, v38
	v_add_f16_e32 v43, v43, v102
	v_fmac_f16_e32 v44, 0xb8b4, v95
	v_fmac_f16_e32 v6, 0x38b4, v95
	v_add_f16_e32 v94, v94, v37
	v_fmamk_f16 v95, v97, 0x3b9c, v101
	v_sub_f16_e32 v102, v38, v37
	v_fmac_f16_e32 v12, -0.5, v96
	v_fmac_f16_e32 v101, 0xbb9c, v97
	v_add_f16_e32 v37, v53, v103
	v_add_f16_e32 v13, v13, v34
	;; [unrolled: 1-line block ×3, first 2 shown]
	v_lshrrev_b32_e32 v11, 16, v7
	v_add_f16_e32 v94, v94, v38
	v_fmac_f16_e32 v95, 0x38b4, v48
	v_add_f16_e32 v96, v99, v102
	v_fmamk_f16 v99, v48, 0xbb9c, v12
	v_fmac_f16_e32 v101, 0xb8b4, v48
	v_fma_f16 v37, -0.5, v37, v7
	v_sub_f16_e32 v38, v14, v39
	v_fmac_f16_e32 v12, 0x3b9c, v48
	v_add_f16_e32 v34, v34, v53
	v_add_f16_e32 v104, v50, v52
	v_fmac_f16_e32 v95, 0x34f2, v96
	v_fmac_f16_e32 v99, 0x38b4, v97
	;; [unrolled: 1-line block ×3, first 2 shown]
	v_fmamk_f16 v48, v38, 0xbb9c, v37
	v_sub_f16_e32 v96, v45, v46
	v_fmac_f16_e32 v12, 0xb8b4, v97
	v_add_f16_e32 v34, v34, v103
	v_fmac_f16_e32 v7, -0.5, v104
	v_fmac_f16_e32 v37, 0x3b9c, v38
	v_add_f16_e32 v104, v11, v14
	v_fmac_f16_e32 v44, 0x34f2, v100
	v_fmac_f16_e32 v6, 0x34f2, v100
	v_fmac_f16_e32 v99, 0x34f2, v13
	v_sub_f16_e32 v100, v50, v53
	v_sub_f16_e32 v102, v52, v103
	v_fmac_f16_e32 v48, 0xb8b4, v96
	v_fmac_f16_e32 v12, 0x34f2, v13
	v_add_f16_e32 v13, v34, v52
	v_fmamk_f16 v34, v96, 0x3b9c, v7
	v_fmac_f16_e32 v37, 0x38b4, v96
	v_fmac_f16_e32 v7, 0xbb9c, v96
	v_add_f16_e32 v96, v104, v45
	v_add_f16_e32 v97, v100, v102
	v_sub_f16_e32 v100, v53, v50
	v_sub_f16_e32 v102, v103, v52
	v_add_f16_e32 v105, v45, v46
	v_fmac_f16_e32 v34, 0xb8b4, v38
	v_fmac_f16_e32 v7, 0x38b4, v38
	v_add_f16_e32 v38, v96, v46
	v_fmac_f16_e32 v48, 0x34f2, v97
	v_add_f16_e32 v100, v100, v102
	v_fma_f16 v102, -0.5, v105, v11
	v_sub_f16_e32 v50, v50, v52
	v_fmac_f16_e32 v37, 0x34f2, v97
	v_add_f16_e32 v96, v14, v39
	v_sub_f16_e32 v53, v53, v103
	v_sub_f16_e32 v97, v14, v45
	;; [unrolled: 1-line block ×3, first 2 shown]
	v_add_f16_e32 v38, v38, v39
	v_sub_f16_e32 v14, v45, v14
	v_sub_f16_e32 v39, v46, v39
	v_fmamk_f16 v52, v50, 0x3b9c, v102
	v_fmac_f16_e32 v11, -0.5, v96
	v_fmac_f16_e32 v102, 0xbb9c, v50
	v_add_f16_e32 v45, v54, v90
	v_add_f16_e32 v14, v14, v39
	v_add_f16_e32 v39, v8, v55
	v_lshrrev_b32_e32 v1, 16, v8
	v_fmac_f16_e32 v52, 0x38b4, v53
	v_add_f16_e32 v96, v97, v103
	v_fmamk_f16 v97, v53, 0xbb9c, v11
	v_fmac_f16_e32 v102, 0xb8b4, v53
	v_fma_f16 v45, -0.5, v45, v8
	v_sub_f16_e32 v46, v40, v47
	v_fmac_f16_e32 v11, 0x3b9c, v53
	v_add_f16_e32 v39, v39, v54
	v_add_f16_e32 v104, v55, v98
	v_fmac_f16_e32 v34, 0x34f2, v100
	v_fmac_f16_e32 v7, 0x34f2, v100
	v_fmac_f16_e32 v52, 0x34f2, v96
	v_fmac_f16_e32 v97, 0x38b4, v50
	v_fmac_f16_e32 v102, 0x34f2, v96
	v_fmamk_f16 v53, v46, 0xbb9c, v45
	v_sub_f16_e32 v96, v35, v42
	v_sub_f16_e32 v100, v55, v54
	;; [unrolled: 1-line block ×3, first 2 shown]
	v_fmac_f16_e32 v11, 0xb8b4, v50
	v_add_f16_e32 v39, v39, v90
	v_fma_f16 v8, -0.5, v104, v8
	v_fmac_f16_e32 v45, 0x3b9c, v46
	v_add_f16_e32 v104, v1, v40
	v_fmac_f16_e32 v97, 0x34f2, v14
	v_fmac_f16_e32 v53, 0xb8b4, v96
	v_add_f16_e32 v50, v100, v103
	v_fmac_f16_e32 v11, 0x34f2, v14
	v_add_f16_e32 v14, v39, v98
	v_fmamk_f16 v39, v96, 0x3b9c, v8
	v_sub_f16_e32 v100, v54, v55
	v_sub_f16_e32 v103, v90, v98
	v_fmac_f16_e32 v45, 0x38b4, v96
	v_add_f16_e32 v105, v35, v42
	v_fmac_f16_e32 v8, 0xbb9c, v96
	v_add_f16_e32 v96, v104, v35
	v_fmac_f16_e32 v39, 0xb8b4, v46
	v_add_f16_e32 v100, v100, v103
	v_fma_f16 v103, -0.5, v105, v1
	v_sub_f16_e32 v55, v55, v98
	v_fmac_f16_e32 v8, 0x38b4, v46
	v_add_f16_e32 v46, v96, v42
	v_add_f16_e32 v96, v40, v47
	v_fmac_f16_e32 v53, 0x34f2, v50
	v_fmac_f16_e32 v45, 0x34f2, v50
	v_fmamk_f16 v50, v55, 0x3b9c, v103
	v_sub_f16_e32 v54, v54, v90
	v_sub_f16_e32 v90, v40, v35
	;; [unrolled: 1-line block ×3, first 2 shown]
	v_fmac_f16_e32 v1, -0.5, v96
	v_fmac_f16_e32 v103, 0xbb9c, v55
	v_sub_f16_e32 v35, v35, v40
	v_sub_f16_e32 v40, v42, v47
	v_add_f16_e32 v42, v92, v41
	v_add_f16_e32 v46, v46, v47
	v_fmac_f16_e32 v50, 0x38b4, v54
	v_add_f16_e32 v90, v90, v98
	v_fmamk_f16 v96, v54, 0xbb9c, v1
	v_fmac_f16_e32 v103, 0xb8b4, v54
	v_add_f16_e32 v35, v35, v40
	v_fmac_f16_e32 v1, 0x3b9c, v54
	v_add_f16_e32 v40, v9, v56
	v_fma_f16 v42, -0.5, v42, v9
	v_sub_f16_e32 v47, v2, v5
	v_fmac_f16_e32 v39, 0x34f2, v100
	v_fmac_f16_e32 v8, 0x34f2, v100
	v_fmac_f16_e32 v50, 0x34f2, v90
	v_fmac_f16_e32 v96, 0x38b4, v55
	v_fmac_f16_e32 v103, 0x34f2, v90
	v_fmac_f16_e32 v1, 0xb8b4, v55
	v_add_f16_e32 v40, v40, v92
	v_fmamk_f16 v54, v47, 0xbb9c, v42
	v_sub_f16_e32 v55, v3, v4
	v_sub_f16_e32 v90, v56, v92
	;; [unrolled: 1-line block ×3, first 2 shown]
	v_fmac_f16_e32 v42, 0x3b9c, v47
	v_add_f16_e32 v100, v56, v93
	v_lshrrev_b32_e32 v10, 16, v9
	v_add_f16_e32 v40, v40, v41
	v_fmac_f16_e32 v54, 0xb8b4, v55
	v_add_f16_e32 v90, v90, v98
	v_fmac_f16_e32 v42, 0x38b4, v55
	v_fmac_f16_e32 v9, -0.5, v100
	v_sub_f16_e32 v98, v92, v56
	v_sub_f16_e32 v100, v41, v93
	v_fmac_f16_e32 v96, 0x34f2, v35
	v_fmac_f16_e32 v1, 0x34f2, v35
	v_add_f16_e32 v35, v40, v93
	v_fmac_f16_e32 v54, 0x34f2, v90
	v_fmac_f16_e32 v42, 0x34f2, v90
	v_fmamk_f16 v40, v55, 0x3b9c, v9
	v_add_f16_e32 v90, v3, v4
	v_fmac_f16_e32 v9, 0xbb9c, v55
	v_sub_f16_e32 v56, v56, v93
	v_add_f16_e32 v93, v98, v100
	v_add_f16_e32 v98, v2, v5
	;; [unrolled: 1-line block ×3, first 2 shown]
	v_fma_f16 v90, -0.5, v90, v10
	v_fmac_f16_e32 v40, 0xb8b4, v47
	v_fmac_f16_e32 v9, 0x38b4, v47
	v_sub_f16_e32 v41, v92, v41
	v_fmac_f16_e32 v10, -0.5, v98
	v_add_f16_e32 v47, v55, v3
	v_fmamk_f16 v55, v56, 0x3b9c, v90
	v_fmac_f16_e32 v40, 0x34f2, v93
	v_fmac_f16_e32 v9, 0x34f2, v93
	v_sub_f16_e32 v92, v2, v3
	v_sub_f16_e32 v93, v5, v4
	v_fmac_f16_e32 v90, 0xbb9c, v56
	v_fmamk_f16 v98, v41, 0xbb9c, v10
	v_sub_f16_e32 v2, v3, v2
	v_sub_f16_e32 v3, v4, v5
	v_fmac_f16_e32 v10, 0x3b9c, v41
	v_add_f16_e32 v47, v47, v4
	v_fmac_f16_e32 v55, 0x38b4, v41
	v_add_f16_e32 v4, v92, v93
	v_fmac_f16_e32 v90, 0xb8b4, v41
	v_fmac_f16_e32 v98, 0x38b4, v56
	v_add_f16_e32 v2, v2, v3
	v_fmac_f16_e32 v10, 0xb8b4, v56
	v_fmac_f16_e32 v55, 0x34f2, v4
	;; [unrolled: 1-line block ×3, first 2 shown]
	v_pack_b32_f16 v4, v91, v95
	v_fmac_f16_e32 v98, 0x34f2, v2
	v_fmac_f16_e32 v10, 0x34f2, v2
	v_pack_b32_f16 v2, v43, v94
	v_add_f16_e32 v3, v47, v5
	v_pack_b32_f16 v5, v44, v99
	v_pack_b32_f16 v6, v6, v12
	ds_store_2addr_stride64_b32 v57, v2, v4 offset1:8
	ds_store_2addr_stride64_b32 v57, v5, v6 offset0:16 offset1:24
	v_pack_b32_f16 v2, v36, v101
	v_pack_b32_f16 v4, v13, v38
	;; [unrolled: 1-line block ×8, first 2 shown]
	ds_store_2addr_stride64_b32 v57, v2, v4 offset0:32 offset1:40
	ds_store_2addr_stride64_b32 v57, v5, v6 offset0:48 offset1:56
	v_pack_b32_f16 v4, v45, v103
	v_pack_b32_f16 v3, v35, v3
	v_pack_b32_f16 v5, v54, v55
	v_pack_b32_f16 v6, v40, v98
	v_pack_b32_f16 v1, v8, v1
	ds_store_2addr_stride64_b32 v57, v7, v11 offset0:64 offset1:80
	ds_store_2addr_stride64_b32 v57, v12, v13 offset0:88 offset1:96
	v_pack_b32_f16 v7, v9, v10
	v_pack_b32_f16 v2, v37, v102
	ds_store_2addr_stride64_b32 v57, v4, v3 offset0:112 offset1:120
	v_pack_b32_f16 v3, v42, v90
	ds_store_2addr_stride64_b32 v57, v5, v6 offset0:128 offset1:136
	ds_store_b32 v33, v1
	ds_store_b32 v57, v7 offset:36864
	ds_store_b32 v49, v2
	ds_store_b32 v51, v3
	global_wb scope:SCOPE_SE
	s_wait_dscnt 0x0
	s_barrier_signal -1
	s_barrier_wait -1
	global_inv scope:SCOPE_SE
	ds_load_2addr_stride64_b32 v[1:2], v57 offset1:8
	ds_load_2addr_stride64_b32 v[3:4], v57 offset0:32 offset1:40
	ds_load_2addr_stride64_b32 v[5:6], v57 offset0:64 offset1:80
	;; [unrolled: 1-line block ×7, first 2 shown]
	ds_load_b32 v36, v49
	ds_load_b32 v37, v51
	;; [unrolled: 1-line block ×3, first 2 shown]
	ds_load_b32 v39, v57 offset:36864
	s_wait_dscnt 0xb
	v_lshrrev_b32_e32 v40, 16, v1
	s_wait_dscnt 0xa
	v_lshrrev_b32_e32 v41, 16, v4
	;; [unrolled: 2-line block ×5, first 2 shown]
	v_mul_f16_e64 v94, v137, v4
	v_mul_f16_e64 v93, v137, v41
	v_mul_f16_e64 v95, v136, v42
	s_wait_dscnt 0x6
	v_lshrrev_b32_e32 v46, 16, v11
	s_wait_dscnt 0x5
	v_lshrrev_b32_e32 v47, 16, v13
	v_lshrrev_b32_e32 v50, 16, v10
	v_fmac_f16_e32 v93, v21, v4
	v_fma_f16 v4, v21, v41, -v94
	v_fmac_f16_e32 v95, v22, v6
	v_mul_f16_e64 v6, v136, v6
	v_mul_f16_e64 v21, v135, v43
	;; [unrolled: 1-line block ×5, first 2 shown]
	v_lshrrev_b32_e32 v52, 16, v12
	v_lshrrev_b32_e32 v53, 16, v14
	v_fma_f16 v6, v22, v42, -v6
	v_fmac_f16_e32 v21, v23, v8
	v_fma_f16 v8, v23, v43, -v41
	v_fmac_f16_e32 v94, v24, v9
	v_fma_f16 v9, v24, v45, -v98
	v_mul_f16_e64 v22, v133, v46
	v_mul_f16_e64 v23, v133, v11
	;; [unrolled: 1-line block ×5, first 2 shown]
	v_lshrrev_b32_e32 v55, 16, v5
	s_wait_dscnt 0x1
	v_lshrrev_b32_e32 v56, 16, v38
	s_wait_dscnt 0x0
	v_lshrrev_b32_e32 v90, 16, v39
	v_fmac_f16_e32 v22, v25, v11
	v_fma_f16 v11, v25, v46, -v23
	v_fmac_f16_e32 v24, v26, v13
	v_fma_f16 v13, v26, v47, -v41
	v_fmac_f16_e32 v42, v27, v10
	v_mul_f16_e64 v10, v131, v10
	v_mul_f16_e64 v23, v130, v52
	;; [unrolled: 1-line block ×5, first 2 shown]
	v_lshrrev_b32_e32 v92, 16, v36
	v_lshrrev_b32_e32 v96, 16, v7
	v_fma_f16 v10, v27, v50, -v10
	v_fmac_f16_e32 v23, v28, v12
	v_fma_f16 v12, v28, v52, -v25
	v_fmac_f16_e32 v26, v29, v14
	v_fma_f16 v14, v29, v53, -v41
	v_mul_f16_e64 v25, v128, v55
	v_mul_f16_e64 v27, v128, v5
	v_mul_f16_e32 v28, v127, v56
	v_mul_f16_e32 v29, v127, v38
	;; [unrolled: 1-line block ×3, first 2 shown]
	v_lshrrev_b32_e32 v44, 16, v2
	v_lshrrev_b32_e32 v97, 16, v37
	v_fmac_f16_e32 v25, v18, v5
	v_fma_f16 v5, v18, v55, -v27
	v_fmac_f16_e32 v28, v19, v38
	v_fma_f16 v18, v19, v56, -v29
	v_fmac_f16_e32 v41, v20, v39
	v_mul_f16_e32 v19, v126, v39
	v_mul_f16_e32 v27, v125, v92
	v_mul_f16_e32 v29, v125, v36
	v_mul_f16_e32 v38, v124, v96
	v_mul_f16_e32 v39, v124, v7
	v_fma_f16 v19, v20, v90, -v19
	v_fmac_f16_e32 v27, v15, v36
	v_fma_f16 v15, v15, v92, -v29
	v_fmac_f16_e32 v38, v16, v7
	v_fma_f16 v7, v16, v96, -v39
	v_sub_f16_e32 v16, v1, v95
	v_mul_f16_e32 v20, v123, v97
	v_sub_f16_e32 v21, v93, v21
	v_mul_f16_e32 v29, v123, v37
	v_sub_f16_e32 v6, v40, v6
	v_sub_f16_e32 v8, v4, v8
	;; [unrolled: 1-line block ×6, first 2 shown]
	v_lshrrev_b32_e32 v48, 16, v34
	v_lshrrev_b32_e32 v54, 16, v35
	v_fma_f16 v1, v1, 2.0, -v16
	v_fma_f16 v36, v93, 2.0, -v21
	v_fmac_f16_e32 v20, v17, v37
	v_fma_f16 v17, v17, v97, -v29
	v_fma_f16 v29, v40, 2.0, -v6
	v_fma_f16 v4, v4, 2.0, -v8
	;; [unrolled: 1-line block ×6, first 2 shown]
	v_lshrrev_b32_e32 v91, 16, v3
	v_sub_f16_e32 v23, v34, v23
	v_sub_f16_e32 v26, v42, v26
	;; [unrolled: 1-line block ×12, first 2 shown]
	v_fma_f16 v34, v34, 2.0, -v23
	v_fma_f16 v40, v42, 2.0, -v26
	;; [unrolled: 1-line block ×8, first 2 shown]
	v_sub_f16_e32 v38, v3, v38
	v_sub_f16_e32 v20, v27, v20
	;; [unrolled: 1-line block ×4, first 2 shown]
	v_fma_f16 v1, v1, 2.0, -v36
	v_fma_f16 v29, v29, 2.0, -v4
	;; [unrolled: 1-line block ×4, first 2 shown]
	v_add_f16_e32 v13, v22, v13
	v_sub_f16_e32 v24, v11, v24
	v_add_f16_e32 v14, v23, v14
	v_sub_f16_e32 v26, v12, v26
	v_sub_f16_e32 v40, v34, v40
	;; [unrolled: 1-line block ×5, first 2 shown]
	v_fma_f16 v3, v3, 2.0, -v38
	v_fma_f16 v27, v27, 2.0, -v20
	;; [unrolled: 1-line block ×8, first 2 shown]
	v_add_f16_e32 v19, v28, v19
	v_sub_f16_e32 v41, v18, v41
	v_pack_b32_f16 v1, v1, v29
	v_pack_b32_f16 v2, v2, v37
	v_add_f16_e32 v8, v16, v8
	v_sub_f16_e32 v21, v6, v21
	v_fma_f16 v34, v34, 2.0, -v40
	v_fma_f16 v42, v42, 2.0, -v10
	;; [unrolled: 1-line block ×4, first 2 shown]
	v_sub_f16_e32 v27, v3, v27
	v_sub_f16_e32 v15, v44, v15
	v_fma_f16 v28, v28, 2.0, -v19
	v_fma_f16 v18, v18, 2.0, -v41
	ds_store_2addr_stride64_b32 v57, v1, v2 offset1:8
	v_pack_b32_f16 v1, v22, v11
	v_pack_b32_f16 v11, v23, v12
	v_add_f16_e32 v17, v38, v17
	v_sub_f16_e32 v20, v7, v20
	v_pack_b32_f16 v2, v39, v9
	v_pack_b32_f16 v10, v40, v10
	;; [unrolled: 1-line block ×4, first 2 shown]
	v_fma_f16 v16, v16, 2.0, -v8
	v_fma_f16 v6, v6, 2.0, -v21
	;; [unrolled: 1-line block ×4, first 2 shown]
	v_pack_b32_f16 v12, v34, v42
	v_pack_b32_f16 v14, v35, v43
	;; [unrolled: 1-line block ×3, first 2 shown]
	ds_store_2addr_stride64_b32 v57, v1, v11 offset0:48 offset1:56
	v_pack_b32_f16 v1, v28, v18
	v_fma_f16 v38, v38, 2.0, -v17
	v_fma_f16 v7, v7, 2.0, -v20
	ds_store_2addr_stride64_b32 v57, v2, v10 offset0:88 offset1:96
	ds_store_2addr_stride64_b32 v57, v9, v13 offset0:128 offset1:136
	ds_store_2addr_stride64_b32 v57, v12, v14 offset0:16 offset1:24
	v_pack_b32_f16 v2, v19, v41
	v_pack_b32_f16 v6, v16, v6
	;; [unrolled: 1-line block ×4, first 2 shown]
	ds_store_2addr_stride64_b32 v57, v1, v4 offset0:64 offset1:80
	v_pack_b32_f16 v4, v27, v15
	v_pack_b32_f16 v1, v25, v5
	ds_store_b32 v57, v2 offset:36864
	v_pack_b32_f16 v2, v38, v7
	v_pack_b32_f16 v5, v17, v20
	ds_store_2addr_stride64_b32 v57, v3, v6 offset0:32 offset1:40
	ds_store_2addr_stride64_b32 v57, v4, v8 offset0:112 offset1:120
	ds_store_b32 v33, v1
	ds_store_b32 v49, v2
	;; [unrolled: 1-line block ×3, first 2 shown]
	global_wb scope:SCOPE_SE
	s_wait_dscnt 0x0
	s_barrier_signal -1
	s_barrier_wait -1
	global_inv scope:SCOPE_SE
	ds_load_2addr_stride64_b32 v[9:10], v57 offset1:8
	s_wait_dscnt 0x0
	v_lshrrev_b32_e32 v3, 16, v9
	v_mul_f16_e32 v4, v89, v9
	s_delay_alu instid0(VALU_DEP_2) | instskip(NEXT) | instid1(VALU_DEP_2)
	v_mul_f16_e32 v1, v89, v3
	v_fma_f16 v3, v85, v3, -v4
	s_delay_alu instid0(VALU_DEP_2) | instskip(NEXT) | instid1(VALU_DEP_2)
	v_fmac_f16_e32 v1, v85, v9
	v_cvt_f32_f16_e32 v3, v3
	ds_load_2addr_stride64_b32 v[8:9], v57 offset0:20 offset1:28
	v_cvt_f32_f16_e32 v1, v1
	v_cvt_f64_f32_e32 v[3:4], v3
	s_delay_alu instid0(VALU_DEP_2) | instskip(SKIP_2) | instid1(VALU_DEP_1)
	v_cvt_f64_f32_e32 v[1:2], v1
	s_wait_dscnt 0x0
	v_lshrrev_b32_e32 v7, 16, v8
	v_mul_f16_e32 v5, v88, v7
	s_delay_alu instid0(VALU_DEP_1) | instskip(SKIP_1) | instid1(VALU_DEP_2)
	v_fmac_f16_e32 v5, v87, v8
	v_mul_f16_e32 v8, v88, v8
	v_cvt_f32_f16_e32 v5, v5
	s_delay_alu instid0(VALU_DEP_2) | instskip(NEXT) | instid1(VALU_DEP_2)
	v_fma_f16 v7, v87, v7, -v8
	v_cvt_f64_f32_e32 v[5:6], v5
	s_wait_alu 0xfffe
	v_mul_f64_e32 v[3:4], s[10:11], v[3:4]
	v_mul_f64_e32 v[1:2], s[10:11], v[1:2]
	s_delay_alu instid0(VALU_DEP_2) | instskip(SKIP_2) | instid1(VALU_DEP_4)
	v_and_or_b32 v3, 0x1ff, v4, v3
	v_lshrrev_b32_e32 v14, 8, v4
	v_bfe_u32 v16, v4, 20, 11
	v_and_or_b32 v1, 0x1ff, v2, v1
	v_lshrrev_b32_e32 v11, 8, v2
	v_bfe_u32 v12, v2, 20, 11
	s_delay_alu instid0(VALU_DEP_3) | instskip(NEXT) | instid1(VALU_DEP_2)
	v_cmp_ne_u32_e64 s0, 0, v1
	v_add_nc_u32_e32 v17, 0xfffffc10, v12
	s_wait_alu 0xf1ff
	s_delay_alu instid0(VALU_DEP_2) | instskip(SKIP_1) | instid1(VALU_DEP_2)
	v_cndmask_b32_e64 v1, 0, 1, s0
	v_cmp_ne_u32_e64 s0, 0, v3
	v_and_or_b32 v15, 0xffe, v11, v1
	v_sub_nc_u32_e32 v1, 0x3f1, v12
	s_wait_alu 0xf1ff
	s_delay_alu instid0(VALU_DEP_3) | instskip(SKIP_3) | instid1(VALU_DEP_4)
	v_cndmask_b32_e64 v3, 0, 1, s0
	v_cvt_f32_f16_e32 v12, v7
	v_or_b32_e32 v11, 0x1000, v15
	v_med3_i32 v1, v1, 0, 13
	v_and_or_b32 v3, 0xffe, v14, v3
	v_sub_nc_u32_e32 v14, 0x3f1, v16
	v_lshl_or_b32 v8, v17, 12, v15
	s_delay_alu instid0(VALU_DEP_4) | instskip(NEXT) | instid1(VALU_DEP_4)
	v_lshrrev_b32_e32 v13, v1, v11
	v_or_b32_e32 v18, 0x1000, v3
	s_delay_alu instid0(VALU_DEP_2) | instskip(NEXT) | instid1(VALU_DEP_1)
	v_lshlrev_b32_e32 v1, v1, v13
	v_cmp_ne_u32_e64 s0, v1, v11
	v_med3_i32 v11, v14, 0, 13
	s_wait_alu 0xf1ff
	s_delay_alu instid0(VALU_DEP_2) | instskip(NEXT) | instid1(VALU_DEP_2)
	v_cndmask_b32_e64 v1, 0, 1, s0
	v_lshrrev_b32_e32 v19, v11, v18
	v_cmp_gt_i32_e64 s0, 1, v17
	s_delay_alu instid0(VALU_DEP_3) | instskip(SKIP_3) | instid1(VALU_DEP_3)
	v_or_b32_e32 v1, v13, v1
	v_mad_co_u64_u32 v[13:14], null, s6, v32, 0
	v_add_nc_u32_e32 v16, 0xfffffc10, v16
	s_wait_alu 0xf1ff
	v_cndmask_b32_e64 v20, v8, v1, s0
	v_lshlrev_b32_e32 v1, v11, v19
	v_mul_f64_e32 v[7:8], s[10:11], v[5:6]
	v_cvt_f64_f32_e32 v[11:12], v12
	s_delay_alu instid0(VALU_DEP_4) | instskip(NEXT) | instid1(VALU_DEP_4)
	v_and_b32_e32 v5, 7, v20
	v_cmp_ne_u32_e64 s0, v1, v18
	s_delay_alu instid0(VALU_DEP_2) | instskip(SKIP_1) | instid1(VALU_DEP_2)
	v_cmp_eq_u32_e64 s1, 3, v5
	s_wait_alu 0xf1ff
	v_cndmask_b32_e64 v1, 0, 1, s0
	v_cmp_lt_i32_e64 s0, 5, v5
	v_lshrrev_b32_e32 v5, 2, v20
	s_delay_alu instid0(VALU_DEP_3)
	v_or_b32_e32 v6, v19, v1
	v_mov_b32_e32 v1, v14
	v_lshl_or_b32 v18, v16, 12, v3
	v_cmp_gt_i32_e64 s2, 1, v16
	s_or_b32 s0, s1, s0
	s_wait_alu 0xfffe
	v_add_co_ci_u32_e64 v19, s0, 0, v5, s0
	s_delay_alu instid0(VALU_DEP_2)
	v_cndmask_b32_e64 v18, v18, v6, s2
	v_cmp_ne_u32_e64 s0, 0, v15
	ds_load_2addr_stride64_b32 v[5:6], v57 offset0:40 offset1:48
	v_mad_co_u64_u32 v[14:15], null, s7, v32, v[1:2]
	v_and_b32_e32 v21, 7, v18
	s_wait_alu 0xf1ff
	v_cndmask_b32_e64 v20, 0, 1, s0
	v_cmp_gt_i32_e64 s0, 31, v17
	v_lshrrev_b32_e32 v18, 2, v18
	v_cmp_eq_u32_e64 s2, 0x40f, v17
	v_cmp_eq_u32_e64 s1, 3, v21
	v_lshl_or_b32 v15, v20, 9, 0x7c00
	s_wait_alu 0xf1ff
	v_cndmask_b32_e64 v1, 0x7c00, v19, s0
	v_cmp_lt_i32_e64 s0, 5, v21
	v_lshrrev_b32_e32 v20, 16, v2
	v_and_or_b32 v7, 0x1ff, v8, v7
	s_delay_alu instid0(VALU_DEP_4) | instskip(NEXT) | instid1(VALU_DEP_4)
	v_cndmask_b32_e64 v19, v1, v15, s2
	s_or_b32 s0, s1, s0
	v_mul_f64_e32 v[1:2], s[10:11], v[11:12]
	s_wait_alu 0xfffe
	v_add_co_ci_u32_e64 v15, s0, 0, v18, s0
	v_cmp_ne_u32_e64 s0, 0, v3
	s_wait_dscnt 0x0
	v_lshrrev_b32_e32 v21, 16, v5
	v_lshrrev_b32_e32 v17, 8, v8
	v_bfe_u32 v22, v8, 20, 11
	v_mad_co_u64_u32 v[11:12], null, s4, v0, 0
	s_wait_alu 0xf1ff
	v_cndmask_b32_e64 v3, 0, 1, s0
	v_cmp_ne_u32_e64 s0, 0, v7
	v_mul_f16_e32 v18, v86, v21
	s_delay_alu instid0(VALU_DEP_3) | instskip(SKIP_1) | instid1(VALU_DEP_3)
	v_lshl_or_b32 v23, v3, 9, 0x7c00
	s_wait_alu 0xf1ff
	v_cndmask_b32_e64 v7, 0, 1, s0
	s_delay_alu instid0(VALU_DEP_3) | instskip(SKIP_2) | instid1(VALU_DEP_4)
	v_fmac_f16_e32 v18, v84, v5
	v_cmp_gt_i32_e64 s0, 31, v16
	v_mov_b32_e32 v3, v12
	v_and_or_b32 v7, 0xffe, v17, v7
	v_sub_nc_u32_e32 v17, 0x3f1, v22
	s_wait_alu 0xf1ff
	v_cndmask_b32_e64 v15, 0x7c00, v15, s0
	v_cmp_eq_u32_e64 s0, 0x40f, v16
	v_or_b32_e32 v24, 0x1000, v7
	v_med3_i32 v25, v17, 0, 13
	v_cvt_f32_f16_e32 v17, v18
	s_wait_alu 0xf1ff
	v_cndmask_b32_e64 v12, v15, v23, s0
	s_delay_alu instid0(VALU_DEP_3) | instskip(NEXT) | instid1(VALU_DEP_3)
	v_lshrrev_b32_e32 v23, v25, v24
	v_cvt_f64_f32_e32 v[15:16], v17
	v_mad_co_u64_u32 v[17:18], null, s5, v0, v[3:4]
	v_lshrrev_b32_e32 v0, 16, v4
	s_delay_alu instid0(VALU_DEP_4)
	v_lshlrev_b32_e32 v3, v25, v23
	v_and_or_b32 v4, 0x8000, v20, v19
	v_and_or_b32 v1, 0x1ff, v2, v1
	v_lshrrev_b32_e32 v20, 8, v2
	v_and_or_b32 v18, 0x8000, v0, v12
	v_cmp_ne_u32_e64 s0, v3, v24
	v_mul_f16_e32 v0, v86, v5
	v_dual_mov_b32 v12, v17 :: v_dual_add_nc_u32 v17, 0xfffffc10, v22
	v_and_b32_e32 v5, 0xffff, v4
	s_wait_alu 0xf1ff
	v_cndmask_b32_e64 v3, 0, 1, s0
	v_cmp_ne_u32_e64 s0, 0, v1
	v_fma_f16 v0, v84, v21, -v0
	v_bfe_u32 v21, v2, 20, 11
	v_lshl_or_b32 v4, v17, 12, v7
	v_or_b32_e32 v3, v23, v3
	s_wait_alu 0xf1ff
	v_cndmask_b32_e64 v19, 0, 1, s0
	v_cvt_f32_f16_e32 v0, v0
	v_cmp_gt_i32_e64 s0, 1, v17
	v_lshl_or_b32 v18, v18, 16, v5
	v_lshlrev_b64_e32 v[11:12], 2, v[11:12]
	v_and_or_b32 v19, 0xffe, v20, v19
	v_sub_nc_u32_e32 v20, 0x3f1, v21
	v_cvt_f64_f32_e32 v[0:1], v0
	s_wait_alu 0xf1ff
	v_cndmask_b32_e64 v22, v4, v3, s0
	v_lshlrev_b64_e32 v[3:4], 2, v[13:14]
	v_or_b32_e32 v23, 0x1000, v19
	v_med3_i32 v20, v20, 0, 13
	v_lshrrev_b32_e32 v2, 16, v2
	v_and_b32_e32 v5, 7, v22
	v_add_co_u32 v3, s0, s8, v3
	s_wait_alu 0xf1ff
	v_add_co_ci_u32_e64 v24, s0, s9, v4, s0
	v_mul_f64_e32 v[13:14], s[10:11], v[15:16]
	v_lshrrev_b32_e32 v15, v20, v23
	v_cmp_lt_i32_e64 s0, 5, v5
	v_cmp_eq_u32_e64 s1, 3, v5
	v_lshrrev_b32_e32 v16, 2, v22
	v_add_co_u32 v11, s2, v3, v11
	v_lshlrev_b32_e32 v20, v20, v15
	s_delay_alu instid0(VALU_DEP_4)
	s_or_b32 s0, s1, s0
	ds_load_2addr_stride64_b32 v[4:5], v57 offset0:60 offset1:68
	s_wait_alu 0xfffe
	v_add_co_ci_u32_e64 v3, s0, 0, v16, s0
	v_cmp_ne_u32_e64 s0, v20, v23
	v_add_nc_u32_e32 v20, 0xfffffc10, v21
	v_add_co_ci_u32_e64 v12, s2, v24, v12, s2
	s_wait_alu 0xf1ff
	s_delay_alu instid0(VALU_DEP_3)
	v_cndmask_b32_e64 v16, 0, 1, s0
	v_cmp_ne_u32_e64 s0, 0, v7
	v_lshl_or_b32 v22, v20, 12, v19
	global_store_b32 v[11:12], v18, off
	v_or_b32_e32 v21, v15, v16
	s_wait_alu 0xf1ff
	v_cndmask_b32_e64 v7, 0, 1, s0
	v_cmp_gt_i32_e64 s0, 31, v17
	v_mul_f64_e32 v[15:16], s[10:11], v[0:1]
	s_delay_alu instid0(VALU_DEP_3) | instskip(SKIP_1) | instid1(VALU_DEP_3)
	v_lshl_or_b32 v7, v7, 9, 0x7c00
	s_wait_alu 0xf1ff
	v_cndmask_b32_e64 v3, 0x7c00, v3, s0
	v_cmp_gt_i32_e64 s0, 1, v20
	s_wait_dscnt 0x0
	v_lshrrev_b32_e32 v23, 16, v4
	s_wait_alu 0xf1ff
	s_delay_alu instid0(VALU_DEP_2) | instskip(SKIP_2) | instid1(VALU_DEP_1)
	v_cndmask_b32_e64 v0, v22, v21, s0
	v_cmp_eq_u32_e64 s0, 0x40f, v17
	s_wait_alu 0xf1ff
	v_cndmask_b32_e64 v1, v3, v7, s0
	v_mul_f16_e32 v3, v83, v23
	v_lshrrev_b32_e32 v7, 16, v8
	v_and_b32_e32 v8, 7, v0
	s_delay_alu instid0(VALU_DEP_3) | instskip(NEXT) | instid1(VALU_DEP_3)
	v_fmac_f16_e32 v3, v82, v4
	v_and_or_b32 v17, 0x8000, v7, v1
	v_and_or_b32 v1, 0x1ff, v14, v13
	s_delay_alu instid0(VALU_DEP_4)
	v_cmp_lt_i32_e64 s0, 5, v8
	v_cmp_eq_u32_e64 s1, 3, v8
	v_cvt_f32_f16_e32 v3, v3
	v_lshrrev_b32_e32 v7, 2, v0
	v_cmp_ne_u32_e64 s2, 0, v1
	v_lshrrev_b32_e32 v13, 8, v14
	s_or_b32 s0, s1, s0
	v_cvt_f64_f32_e32 v[0:1], v3
	v_bfe_u32 v3, v14, 20, 11
	v_cndmask_b32_e64 v8, 0, 1, s2
	s_wait_alu 0xfffe
	v_add_co_ci_u32_e64 v7, s0, 0, v7, s0
	v_mul_f16_e32 v4, v83, v4
	v_cmp_ne_u32_e64 s0, 0, v19
	v_and_or_b32 v13, 0xffe, v13, v8
	v_sub_nc_u32_e32 v8, 0x3f1, v3
	v_and_or_b32 v15, 0x1ff, v16, v15
	v_fma_f16 v4, v82, v23, -v4
	s_wait_alu 0xf1ff
	v_cndmask_b32_e64 v18, 0, 1, s0
	v_cmp_gt_i32_e64 s0, 31, v20
	v_or_b32_e32 v19, 0x1000, v13
	v_med3_i32 v21, v8, 0, 13
	v_cvt_f32_f16_e32 v4, v4
	v_lshl_or_b32 v8, v18, 9, 0x7c00
	s_wait_alu 0xf1ff
	v_cndmask_b32_e64 v7, 0x7c00, v7, s0
	v_cmp_eq_u32_e64 s0, 0x40f, v20
	v_lshrrev_b32_e32 v18, v21, v19
	v_bfe_u32 v22, v16, 20, 11
	s_wait_alu 0xf1ff
	s_delay_alu instid0(VALU_DEP_3)
	v_cndmask_b32_e64 v20, v7, v8, s0
	v_cvt_f64_f32_e32 v[7:8], v4
	v_lshlrev_b32_e32 v4, v21, v18
	v_cmp_ne_u32_e64 s0, 0, v15
	v_lshrrev_b32_e32 v21, 8, v16
	v_and_or_b32 v20, 0x8000, v2, v20
	v_lshrrev_b32_e32 v16, 16, v16
	s_wait_alu 0xf1ff
	v_cndmask_b32_e64 v15, 0, 1, s0
	v_cmp_ne_u32_e64 s0, v4, v19
	v_add_nc_u32_e32 v19, 0xfffffc10, v3
	v_sub_nc_u32_e32 v3, 0x3f1, v22
	s_delay_alu instid0(VALU_DEP_4)
	v_and_or_b32 v15, 0xffe, v21, v15
	s_wait_alu 0xf1ff
	v_cndmask_b32_e64 v4, 0, 1, s0
	v_mul_f64_e32 v[1:2], s[10:11], v[0:1]
	v_lshl_or_b32 v21, v19, 12, v13
	v_cmp_gt_i32_e64 s0, 1, v19
	v_or_b32_e32 v23, 0x1000, v15
	v_or_b32_e32 v18, v18, v4
	v_med3_i32 v24, v3, 0, 13
	v_and_b32_e32 v0, 0xffff, v17
	ds_load_2addr_stride64_b32 v[3:4], v57 offset0:80 offset1:88
	s_wait_alu 0xf1ff
	v_cndmask_b32_e64 v17, v21, v18, s0
	v_lshrrev_b32_e32 v18, v24, v23
	s_mul_u64 s[0:1], s[4:5], 0x500
	v_lshl_or_b32 v20, v20, 16, v0
	s_wait_alu 0xfffe
	s_lshl_b64 s[6:7], s[0:1], 2
	v_and_b32_e32 v0, 7, v17
	s_wait_alu 0xfffe
	v_add_co_u32 v11, s0, v11, s6
	v_lshlrev_b32_e32 v21, v24, v18
	s_wait_alu 0xf1ff
	v_add_co_ci_u32_e64 v12, s0, s7, v12, s0
	v_cmp_lt_i32_e64 s0, 5, v0
	v_cmp_eq_u32_e64 s1, 3, v0
	v_lshrrev_b32_e32 v0, 2, v17
	v_cmp_ne_u32_e64 s2, v21, v23
	v_mul_f64_e32 v[7:8], s[10:11], v[7:8]
	v_add_nc_u32_e32 v21, 0xfffffc10, v22
	s_or_b32 s0, s1, s0
	s_wait_dscnt 0x0
	v_lshrrev_b32_e32 v22, 16, v3
	s_wait_alu 0xfffe
	v_add_co_ci_u32_e64 v0, s0, 0, v0, s0
	v_cndmask_b32_e64 v17, 0, 1, s2
	v_cmp_ne_u32_e64 s0, 0, v13
	v_mul_f16_e32 v23, v81, v22
	global_store_b32 v[11:12], v20, off
	v_or_b32_e32 v17, v18, v17
	v_lshl_or_b32 v18, v21, 12, v15
	s_wait_alu 0xf1ff
	v_cndmask_b32_e64 v13, 0, 1, s0
	v_cmp_gt_i32_e64 s0, 1, v21
	v_and_or_b32 v1, 0x1ff, v2, v1
	v_fmac_f16_e32 v23, v79, v3
	v_bfe_u32 v24, v2, 20, 11
	v_lshl_or_b32 v13, v13, 9, 0x7c00
	s_wait_alu 0xf1ff
	v_cndmask_b32_e64 v17, v18, v17, s0
	v_cmp_gt_i32_e64 s0, 31, v19
	v_cmp_ne_u32_e64 s1, 0, v1
	v_cvt_f32_f16_e32 v23, v23
	s_delay_alu instid0(VALU_DEP_4)
	v_and_b32_e32 v18, 7, v17
	s_wait_alu 0xf1ff
	v_cndmask_b32_e64 v0, 0x7c00, v0, s0
	v_cmp_eq_u32_e64 s0, 0x40f, v19
	v_lshrrev_b32_e32 v19, 16, v14
	v_cndmask_b32_e64 v1, 0, 1, s1
	v_cmp_eq_u32_e64 s1, 3, v18
	s_wait_alu 0xf1ff
	v_cndmask_b32_e64 v0, v0, v13, s0
	v_cmp_lt_i32_e64 s0, 5, v18
	v_cvt_f64_f32_e32 v[13:14], v23
	v_lshrrev_b32_e32 v23, 8, v2
	v_lshrrev_b32_e32 v2, 16, v2
	v_and_or_b32 v19, 0x8000, v19, v0
	v_lshrrev_b32_e32 v0, 2, v17
	s_or_b32 s0, s1, s0
	v_and_or_b32 v23, 0xffe, v23, v1
	v_sub_nc_u32_e32 v1, 0x3f1, v24
	v_and_or_b32 v7, 0x1ff, v8, v7
	s_wait_alu 0xfffe
	v_add_co_ci_u32_e64 v0, s0, 0, v0, s0
	v_cmp_gt_i32_e64 s0, 31, v21
	v_or_b32_e32 v17, 0x1000, v23
	v_med3_i32 v1, v1, 0, 13
	v_lshrrev_b32_e32 v18, 8, v8
	v_bfe_u32 v26, v8, 20, 11
	s_wait_alu 0xf1ff
	v_cndmask_b32_e64 v25, 0x7c00, v0, s0
	v_cmp_ne_u32_e64 s0, 0, v15
	v_lshrrev_b32_e32 v15, v1, v17
	v_and_b32_e32 v19, 0xffff, v19
	s_wait_alu 0xf1ff
	s_delay_alu instid0(VALU_DEP_3) | instskip(SKIP_2) | instid1(VALU_DEP_3)
	v_cndmask_b32_e64 v0, 0, 1, s0
	v_cmp_ne_u32_e64 s0, 0, v7
	v_lshlrev_b32_e32 v1, v1, v15
	v_lshl_or_b32 v27, v0, 9, 0x7c00
	s_wait_alu 0xf1ff
	s_delay_alu instid0(VALU_DEP_3) | instskip(SKIP_2) | instid1(VALU_DEP_3)
	v_cndmask_b32_e64 v7, 0, 1, s0
	v_mul_f16_e32 v0, v81, v3
	v_cmp_ne_u32_e64 s0, v1, v17
	v_and_or_b32 v3, 0xffe, v18, v7
	s_delay_alu instid0(VALU_DEP_3) | instskip(SKIP_1) | instid1(VALU_DEP_3)
	v_fma_f16 v18, v79, v22, -v0
	s_wait_alu 0xf1ff
	v_cndmask_b32_e64 v17, 0, 1, s0
	v_sub_nc_u32_e32 v7, 0x3f1, v26
	ds_load_2addr_stride64_b32 v[0:1], v57 offset0:100 offset1:108
	v_add_nc_u32_e32 v22, 0xfffffc10, v24
	v_cvt_f32_f16_e32 v18, v18
	v_or_b32_e32 v15, v15, v17
	v_or_b32_e32 v24, 0x1000, v3
	v_med3_i32 v7, v7, 0, 13
	v_cmp_eq_u32_e64 s0, 0x40f, v21
	v_cvt_f64_f32_e32 v[17:18], v18
	v_mul_f64_e32 v[13:14], s[10:11], v[13:14]
	v_lshl_or_b32 v28, v22, 12, v23
	v_lshrrev_b32_e32 v29, v7, v24
	s_wait_alu 0xf1ff
	v_cndmask_b32_e64 v21, v25, v27, s0
	v_cmp_gt_i32_e64 s0, 1, v22
	s_delay_alu instid0(VALU_DEP_3) | instskip(NEXT) | instid1(VALU_DEP_3)
	v_lshlrev_b32_e32 v7, v7, v29
	v_and_or_b32 v16, 0x8000, v16, v21
	s_wait_alu 0xf1ff
	s_delay_alu instid0(VALU_DEP_3)
	v_cndmask_b32_e64 v15, v28, v15, s0
	v_add_nc_u32_e32 v21, 0xfffffc10, v26
	v_cmp_ne_u32_e64 s0, v7, v24
	s_wait_dscnt 0x0
	v_lshrrev_b32_e32 v24, 16, v0
	v_and_b32_e32 v20, 7, v15
	v_lshrrev_b32_e32 v15, 2, v15
	v_lshl_or_b32 v19, v16, 16, v19
	s_wait_alu 0xf1ff
	v_cndmask_b32_e64 v7, 0, 1, s0
	v_mul_f16_e32 v25, v80, v24
	v_cmp_lt_i32_e64 s0, 5, v20
	v_cmp_eq_u32_e64 s1, 3, v20
	v_lshl_or_b32 v16, v21, 12, v3
	v_or_b32_e32 v7, v29, v7
	v_cmp_gt_i32_e64 s2, 1, v21
	v_fmac_f16_e32 v25, v76, v0
	s_or_b32 s0, s1, s0
	v_mul_f16_e32 v0, v80, v0
	s_wait_alu 0xfffe
	v_add_co_ci_u32_e64 v15, s0, 0, v15, s0
	v_cmp_ne_u32_e64 s0, 0, v23
	v_cndmask_b32_e64 v7, v16, v7, s2
	v_cvt_f32_f16_e32 v23, v25
	v_fma_f16 v0, v76, v24, -v0
	s_wait_alu 0xf1ff
	v_cndmask_b32_e64 v16, 0, 1, s0
	v_cmp_gt_i32_e64 s0, 31, v22
	v_and_b32_e32 v20, 7, v7
	v_mul_f64_e32 v[17:18], s[10:11], v[17:18]
	v_and_or_b32 v13, 0x1ff, v14, v13
	v_lshl_or_b32 v26, v16, 9, 0x7c00
	s_wait_alu 0xf1ff
	v_cndmask_b32_e64 v25, 0x7c00, v15, s0
	v_cvt_f64_f32_e32 v[15:16], v23
	v_cmp_lt_i32_e64 s0, 5, v20
	v_cmp_ne_u32_e64 s2, 0, v13
	v_cmp_eq_u32_e64 s1, 3, v20
	v_lshrrev_b32_e32 v20, 8, v14
	v_bfe_u32 v23, v14, 20, 11
	v_lshrrev_b32_e32 v7, 2, v7
	s_wait_alu 0xf1ff
	v_cndmask_b32_e64 v13, 0, 1, s2
	s_or_b32 s0, s1, s0
	v_cmp_eq_u32_e64 s2, 0x40f, v22
	v_cvt_f32_f16_e32 v0, v0
	s_wait_alu 0xfffe
	v_add_co_ci_u32_e64 v7, s0, 0, v7, s0
	v_and_or_b32 v13, 0xffe, v20, v13
	v_sub_nc_u32_e32 v20, 0x3f1, v23
	v_cmp_ne_u32_e64 s0, 0, v3
	s_wait_alu 0xf1ff
	v_cndmask_b32_e64 v22, v25, v26, s2
	v_lshrrev_b32_e32 v14, 16, v14
	v_or_b32_e32 v25, 0x1000, v13
	v_med3_i32 v20, v20, 0, 13
	v_cndmask_b32_e64 v3, 0, 1, s0
	v_cmp_gt_i32_e64 s0, 31, v21
	v_and_or_b32 v22, 0x8000, v2, v22
	s_delay_alu instid0(VALU_DEP_4) | instskip(NEXT) | instid1(VALU_DEP_4)
	v_lshrrev_b32_e32 v26, v20, v25
	v_lshl_or_b32 v3, v3, 9, 0x7c00
	s_wait_alu 0xf1ff
	v_cndmask_b32_e64 v7, 0x7c00, v7, s0
	v_add_co_u32 v11, s0, v11, s6
	s_wait_alu 0xf1ff
	v_add_co_ci_u32_e64 v12, s0, s7, v12, s0
	v_lshlrev_b32_e32 v2, v20, v26
	v_cmp_eq_u32_e64 s0, 0x40f, v21
	v_add_nc_u32_e32 v21, 0xfffffc10, v23
	v_lshrrev_b32_e32 v23, 8, v18
	v_and_b32_e32 v22, 0xffff, v22
	global_store_b32 v[11:12], v19, off
	s_wait_alu 0xf1ff
	v_cndmask_b32_e64 v3, v7, v3, s0
	v_lshrrev_b32_e32 v7, 16, v8
	v_cmp_ne_u32_e64 s0, v2, v25
	v_and_or_b32 v8, 0x1ff, v18, v17
	v_mul_f64_e32 v[15:16], s[10:11], v[15:16]
	v_add_co_u32 v11, s2, v11, s6
	s_wait_alu 0xf1ff
	v_cndmask_b32_e64 v2, 0, 1, s0
	v_cmp_ne_u32_e64 s0, 0, v8
	v_and_or_b32 v17, 0x8000, v7, v3
	v_cvt_f64_f32_e32 v[7:8], v0
	v_bfe_u32 v0, v18, 20, 11
	v_or_b32_e32 v2, v26, v2
	s_wait_alu 0xf1ff
	v_cndmask_b32_e64 v20, 0, 1, s0
	v_lshl_or_b32 v3, v21, 12, v13
	v_cmp_gt_i32_e64 s0, 1, v21
	v_lshl_or_b32 v26, v17, 16, v22
	v_lshrrev_b32_e32 v18, 16, v18
	v_and_or_b32 v23, 0xffe, v23, v20
	v_sub_nc_u32_e32 v20, 0x3f1, v0
	s_wait_alu 0xf1ff
	v_cndmask_b32_e64 v24, v3, v2, s0
	ds_load_2addr_stride64_b32 v[2:3], v57 offset0:120 offset1:128
	v_add_nc_u32_e32 v0, 0xfffffc10, v0
	v_or_b32_e32 v19, 0x1000, v23
	v_med3_i32 v20, v20, 0, 13
	v_and_b32_e32 v25, 7, v24
	v_lshrrev_b32_e32 v17, 2, v24
	v_lshl_or_b32 v27, v0, 12, v23
	v_add_co_ci_u32_e64 v12, s2, s7, v12, s2
	v_lshrrev_b32_e32 v22, v20, v19
	v_cmp_lt_i32_e64 s0, 5, v25
	v_cmp_eq_u32_e64 s1, 3, v25
	s_delay_alu instid0(VALU_DEP_3) | instskip(NEXT) | instid1(VALU_DEP_2)
	v_lshlrev_b32_e32 v20, v20, v22
	s_or_b32 s0, s1, s0
	s_wait_alu 0xfffe
	v_add_co_ci_u32_e64 v17, s0, 0, v17, s0
	s_delay_alu instid0(VALU_DEP_2)
	v_cmp_ne_u32_e64 s0, v20, v19
	v_and_or_b32 v15, 0x1ff, v16, v15
	s_wait_dscnt 0x0
	v_lshrrev_b32_e32 v24, 16, v2
	v_bfe_u32 v28, v16, 20, 11
	s_wait_alu 0xf1ff
	v_cndmask_b32_e64 v19, 0, 1, s0
	v_cmp_ne_u32_e64 s0, 0, v13
	v_mul_f16_e32 v25, v78, v24
	s_delay_alu instid0(VALU_DEP_3) | instskip(SKIP_1) | instid1(VALU_DEP_3)
	v_or_b32_e32 v22, v22, v19
	s_wait_alu 0xf1ff
	v_cndmask_b32_e64 v13, 0, 1, s0
	v_cmp_ne_u32_e64 s0, 0, v15
	v_fmac_f16_e32 v25, v77, v2
	v_mul_f64_e32 v[19:20], s[10:11], v[7:8]
	v_lshrrev_b32_e32 v7, 8, v16
	v_lshl_or_b32 v13, v13, 9, 0x7c00
	s_wait_alu 0xf1ff
	v_cndmask_b32_e64 v15, 0, 1, s0
	v_cmp_gt_i32_e64 s0, 1, v0
	v_cvt_f32_f16_e32 v8, v25
	v_sub_nc_u32_e32 v25, 0x3f1, v28
	v_mul_f16_e32 v2, v78, v2
	v_and_or_b32 v15, 0xffe, v7, v15
	s_wait_alu 0xf1ff
	v_cndmask_b32_e64 v22, v27, v22, s0
	v_cmp_gt_i32_e64 s0, 31, v21
	v_med3_i32 v25, v25, 0, 13
	v_cvt_f64_f32_e32 v[7:8], v8
	v_or_b32_e32 v29, 0x1000, v15
	v_and_b32_e32 v27, 7, v22
	s_wait_alu 0xf1ff
	v_cndmask_b32_e64 v17, 0x7c00, v17, s0
	v_cmp_eq_u32_e64 s0, 0x40f, v21
	v_fma_f16 v2, v77, v24, -v2
	v_add_nc_u32_e32 v24, 0xfffffc10, v28
	v_cmp_eq_u32_e64 s1, 3, v27
	s_wait_alu 0xf1ff
	v_cndmask_b32_e64 v13, v17, v13, s0
	v_lshrrev_b32_e32 v17, v25, v29
	v_cmp_lt_i32_e64 s0, 5, v27
	v_cvt_f32_f16_e32 v2, v2
	s_delay_alu instid0(VALU_DEP_4) | instskip(SKIP_4) | instid1(VALU_DEP_2)
	v_and_or_b32 v27, 0x8000, v14, v13
	v_lshrrev_b32_e32 v13, 2, v22
	v_lshlrev_b32_e32 v14, v25, v17
	s_or_b32 s0, s1, s0
	s_wait_alu 0xfffe
	v_add_co_ci_u32_e64 v13, s0, 0, v13, s0
	s_delay_alu instid0(VALU_DEP_2) | instskip(SKIP_2) | instid1(VALU_DEP_2)
	v_cmp_ne_u32_e64 s0, v14, v29
	v_and_or_b32 v19, 0x1ff, v20, v19
	s_wait_alu 0xf1ff
	v_cndmask_b32_e64 v21, 0, 1, s0
	v_cmp_gt_i32_e64 s0, 31, v0
	v_bfe_u32 v28, v20, 20, 11
	s_wait_alu 0xf1ff
	s_delay_alu instid0(VALU_DEP_2)
	v_cndmask_b32_e64 v25, 0x7c00, v13, s0
	v_cmp_ne_u32_e64 s0, 0, v23
	v_cvt_f64_f32_e32 v[13:14], v2
	v_or_b32_e32 v2, v17, v21
	v_lshl_or_b32 v17, v24, 12, v15
	v_mul_f64_e32 v[21:22], s[10:11], v[7:8]
	s_wait_alu 0xf1ff
	v_cndmask_b32_e64 v23, 0, 1, s0
	v_cmp_gt_i32_e64 s0, 1, v24
	ds_load_2addr_stride64_b32 v[7:8], v57 offset0:140 offset1:148
	v_lshl_or_b32 v23, v23, 9, 0x7c00
	s_wait_alu 0xf1ff
	v_cndmask_b32_e64 v2, v17, v2, s0
	v_cmp_ne_u32_e64 s0, 0, v19
	v_lshrrev_b32_e32 v19, 8, v20
	s_delay_alu instid0(VALU_DEP_3) | instskip(SKIP_1) | instid1(VALU_DEP_3)
	v_and_b32_e32 v29, 7, v2
	s_wait_alu 0xf1ff
	v_cndmask_b32_e64 v17, 0, 1, s0
	v_cmp_eq_u32_e64 s0, 0x40f, v0
	v_lshrrev_b32_e32 v2, 2, v2
	v_cmp_eq_u32_e64 s1, 3, v29
	s_delay_alu instid0(VALU_DEP_4)
	v_and_or_b32 v17, 0xffe, v19, v17
	v_sub_nc_u32_e32 v19, 0x3f1, v28
	s_wait_alu 0xf1ff
	v_cndmask_b32_e64 v0, v25, v23, s0
	v_cmp_lt_i32_e64 s0, 5, v29
	v_or_b32_e32 v23, 0x1000, v17
	v_med3_i32 v19, v19, 0, 13
	s_delay_alu instid0(VALU_DEP_4) | instskip(NEXT) | instid1(VALU_DEP_4)
	v_and_or_b32 v0, 0x8000, v18, v0
	s_or_b32 s0, s1, s0
	v_and_b32_e32 v18, 0xffff, v27
	s_wait_alu 0xfffe
	v_add_co_ci_u32_e64 v2, s0, 0, v2, s0
	v_lshrrev_b32_e32 v25, v19, v23
	v_cmp_ne_u32_e64 s0, 0, v15
	s_wait_dscnt 0x0
	v_lshrrev_b32_e32 v27, 16, v7
	v_lshl_or_b32 v0, v0, 16, v18
	v_lshlrev_b32_e32 v19, v19, v25
	s_wait_alu 0xf1ff
	v_cndmask_b32_e64 v15, 0, 1, s0
	v_cmp_gt_i32_e64 s0, 31, v24
	v_mul_f64_e32 v[13:14], s[10:11], v[13:14]
	v_mul_f16_e32 v29, v75, v27
	v_and_or_b32 v21, 0x1ff, v22, v21
	v_lshl_or_b32 v15, v15, 9, 0x7c00
	s_wait_alu 0xf1ff
	v_cndmask_b32_e64 v2, 0x7c00, v2, s0
	v_cmp_ne_u32_e64 s0, v19, v23
	v_add_nc_u32_e32 v23, 0xfffffc10, v28
	v_fmac_f16_e32 v29, v74, v7
	v_mul_f16_e32 v7, v75, v7
	s_wait_alu 0xf1ff
	v_cndmask_b32_e64 v19, 0, 1, s0
	v_cmp_eq_u32_e64 s0, 0x40f, v24
	v_cvt_f32_f16_e32 v24, v29
	v_bfe_u32 v29, v22, 20, 11
	v_fma_f16 v7, v74, v27, -v7
	s_wait_alu 0xf1ff
	v_cndmask_b32_e64 v2, v2, v15, s0
	v_or_b32_e32 v15, v25, v19
	v_lshl_or_b32 v19, v23, 12, v17
	v_cmp_gt_i32_e64 s0, 1, v23
	v_lshrrev_b32_e32 v25, 16, v16
	v_sub_nc_u32_e32 v18, 0x3f1, v29
	v_cvt_f32_f16_e32 v7, v7
	s_wait_alu 0xf1ff
	v_cndmask_b32_e64 v19, v19, v15, s0
	v_cmp_ne_u32_e64 s0, 0, v21
	v_cvt_f64_f32_e32 v[15:16], v24
	v_lshrrev_b32_e32 v24, 8, v22
	v_med3_i32 v18, v18, 0, 13
	v_and_b32_e32 v28, 7, v19
	s_wait_alu 0xf1ff
	v_cndmask_b32_e64 v21, 0, 1, s0
	v_lshrrev_b32_e32 v19, 2, v19
	v_and_or_b32 v2, 0x8000, v25, v2
	v_lshrrev_b32_e32 v22, 16, v22
	v_cmp_lt_i32_e64 s0, 5, v28
	v_cmp_eq_u32_e64 s1, 3, v28
	v_and_or_b32 v21, 0xffe, v24, v21
	v_and_b32_e32 v2, 0xffff, v2
	v_and_or_b32 v13, 0x1ff, v14, v13
	v_bfe_u32 v32, v14, 20, 11
	s_or_b32 s0, s1, s0
	v_or_b32_e32 v24, 0x1000, v21
	s_wait_alu 0xfffe
	v_add_co_ci_u32_e64 v19, s0, 0, v19, s0
	v_cmp_ne_u32_e64 s0, 0, v17
	s_delay_alu instid0(VALU_DEP_3) | instskip(SKIP_1) | instid1(VALU_DEP_2)
	v_lshrrev_b32_e32 v25, v18, v24
	s_wait_alu 0xf1ff
	v_cndmask_b32_e64 v17, 0, 1, s0
	v_cmp_gt_i32_e64 s0, 31, v23
	s_delay_alu instid0(VALU_DEP_3) | instskip(NEXT) | instid1(VALU_DEP_3)
	v_lshlrev_b32_e32 v28, v18, v25
	v_lshl_or_b32 v27, v17, 9, 0x7c00
	s_wait_alu 0xf1ff
	s_delay_alu instid0(VALU_DEP_3) | instskip(SKIP_4) | instid1(VALU_DEP_3)
	v_cndmask_b32_e64 v19, 0x7c00, v19, s0
	v_cmp_ne_u32_e64 s0, 0, v13
	v_cvt_f64_f32_e32 v[17:18], v7
	v_lshrrev_b32_e32 v13, 8, v14
	s_wait_alu 0xf1ff
	v_cndmask_b32_e64 v7, 0, 1, s0
	v_cmp_ne_u32_e64 s0, v28, v24
	v_add_nc_u32_e32 v28, 0xfffffc10, v29
	v_mul_f64_e32 v[15:16], s[10:11], v[15:16]
	s_delay_alu instid0(VALU_DEP_4)
	v_and_or_b32 v7, 0xffe, v13, v7
	s_wait_alu 0xf1ff
	v_cndmask_b32_e64 v24, 0, 1, s0
	v_sub_nc_u32_e32 v13, 0x3f1, v32
	v_cmp_eq_u32_e64 s0, 0x40f, v23
	v_or_b32_e32 v29, 0x1000, v7
	s_delay_alu instid0(VALU_DEP_4)
	v_or_b32_e32 v24, v25, v24
	v_lshl_or_b32 v25, v28, 12, v21
	v_med3_i32 v13, v13, 0, 13
	s_wait_alu 0xf1ff
	v_cndmask_b32_e64 v23, v19, v27, s0
	v_cmp_gt_i32_e64 s0, 1, v28
	v_lshrrev_b32_e32 v27, 16, v20
	s_wait_alu 0xf1ff
	s_delay_alu instid0(VALU_DEP_2) | instskip(SKIP_3) | instid1(VALU_DEP_4)
	v_cndmask_b32_e64 v24, v25, v24, s0
	v_lshrrev_b32_e32 v25, v13, v29
	v_add_co_u32 v19, s0, v11, s6
	v_and_or_b32 v23, 0x8000, v27, v23
	v_and_b32_e32 v27, 7, v24
	s_delay_alu instid0(VALU_DEP_4)
	v_lshlrev_b32_e32 v13, v13, v25
	s_wait_alu 0xf1ff
	v_add_co_ci_u32_e64 v20, s0, s7, v12, s0
	s_clause 0x1
	global_store_b32 v[11:12], v26, off
	global_store_b32 v[19:20], v0, off
	v_cmp_ne_u32_e64 s1, v13, v29
	v_lshl_or_b32 v0, v23, 16, v2
	v_cmp_lt_i32_e64 s0, 5, v27
	v_lshrrev_b32_e32 v23, 2, v24
	v_mul_f64_e32 v[11:12], s[10:11], v[17:18]
	s_wait_alu 0xf1ff
	v_cndmask_b32_e64 v2, 0, 1, s1
	v_cmp_eq_u32_e64 s1, 3, v27
	v_add_nc_u32_e32 v13, 0xfffffc10, v32
	v_and_or_b32 v15, 0x1ff, v16, v15
	s_delay_alu instid0(VALU_DEP_4) | instskip(NEXT) | instid1(VALU_DEP_4)
	v_or_b32_e32 v2, v25, v2
	s_or_b32 s0, s1, s0
	s_delay_alu instid0(VALU_DEP_3)
	v_lshl_or_b32 v17, v13, 12, v7
	s_wait_alu 0xfffe
	v_add_co_ci_u32_e64 v18, s0, 0, v23, s0
	v_cmp_ne_u32_e64 s0, 0, v21
	v_lshrrev_b32_e32 v23, 16, v10
	v_lshrrev_b32_e32 v25, 8, v16
	v_bfe_u32 v26, v16, 20, 11
	v_lshrrev_b32_e32 v16, 16, v16
	s_wait_alu 0xf1ff
	v_cndmask_b32_e64 v21, 0, 1, s0
	v_cmp_gt_i32_e64 s0, 1, v13
	v_mul_f16_e32 v24, v73, v23
	s_wait_alu 0xf1ff
	s_delay_alu instid0(VALU_DEP_2) | instskip(SKIP_1) | instid1(VALU_DEP_3)
	v_cndmask_b32_e64 v2, v17, v2, s0
	v_cmp_gt_i32_e64 s0, 31, v28
	v_fmac_f16_e32 v24, v72, v10
	v_mul_f16_e32 v10, v73, v10
	s_wait_alu 0xf1ff
	s_delay_alu instid0(VALU_DEP_3)
	v_cndmask_b32_e64 v17, 0x7c00, v18, s0
	v_cmp_ne_u32_e64 s0, 0, v15
	v_lshl_or_b32 v18, v21, 9, 0x7c00
	v_and_b32_e32 v21, 7, v2
	v_lshrrev_b32_e32 v2, 2, v2
	v_fma_f16 v10, v72, v23, -v10
	s_wait_alu 0xf1ff
	v_cndmask_b32_e64 v15, 0, 1, s0
	v_cmp_eq_u32_e64 s0, 0x40f, v28
	v_cmp_eq_u32_e64 s1, 3, v21
	v_and_or_b32 v11, 0x1ff, v12, v11
	s_delay_alu instid0(VALU_DEP_4)
	v_and_or_b32 v15, 0xffe, v25, v15
	s_wait_alu 0xf1ff
	v_cndmask_b32_e64 v27, v17, v18, s0
	v_cmp_lt_i32_e64 s0, 5, v21
	v_sub_nc_u32_e32 v17, 0x3f1, v26
	v_cvt_f32_f16_e32 v18, v24
	v_or_b32_e32 v21, 0x1000, v15
	v_lshrrev_b32_e32 v28, 8, v12
	s_or_b32 s0, s1, s0
	v_med3_i32 v24, v17, 0, 13
	s_wait_alu 0xfffe
	v_add_co_ci_u32_e64 v2, s0, 0, v2, s0
	v_cmp_gt_i32_e64 s0, 31, v13
	v_cvt_f64_f32_e32 v[17:18], v18
	v_lshrrev_b32_e32 v25, v24, v21
	v_bfe_u32 v29, v12, 20, 11
	v_cvt_f32_f16_e32 v10, v10
	s_wait_alu 0xf1ff
	v_cndmask_b32_e64 v2, 0x7c00, v2, s0
	v_cmp_ne_u32_e64 s0, 0, v7
	v_lshlrev_b32_e32 v24, v24, v25
	s_wait_alu 0xf1ff
	s_delay_alu instid0(VALU_DEP_2) | instskip(SKIP_1) | instid1(VALU_DEP_2)
	v_cndmask_b32_e64 v7, 0, 1, s0
	v_cmp_ne_u32_e64 s0, 0, v11
	v_lshl_or_b32 v7, v7, 9, 0x7c00
	s_wait_alu 0xf1ff
	s_delay_alu instid0(VALU_DEP_2) | instskip(SKIP_2) | instid1(VALU_DEP_3)
	v_cndmask_b32_e64 v11, 0, 1, s0
	v_cmp_ne_u32_e64 s0, v24, v21
	v_add_nc_u32_e32 v24, 0xfffffc10, v26
	v_and_or_b32 v26, 0xffe, v28, v11
	s_wait_alu 0xf1ff
	s_delay_alu instid0(VALU_DEP_3) | instskip(SKIP_3) | instid1(VALU_DEP_4)
	v_cndmask_b32_e64 v21, 0, 1, s0
	v_sub_nc_u32_e32 v11, 0x3f1, v29
	v_lshl_or_b32 v23, v24, 12, v15
	v_cmp_gt_i32_e64 s0, 1, v24
	v_or_b32_e32 v21, v25, v21
	v_or_b32_e32 v25, 0x1000, v26
	v_med3_i32 v28, v11, 0, 13
	v_cvt_f64_f32_e32 v[10:11], v10
	s_wait_alu 0xf1ff
	v_cndmask_b32_e64 v21, v23, v21, s0
	v_cmp_eq_u32_e64 s0, 0x40f, v13
	v_lshrrev_b32_e32 v23, v28, v25
	s_delay_alu instid0(VALU_DEP_3) | instskip(SKIP_1) | instid1(VALU_DEP_3)
	v_and_b32_e32 v32, 7, v21
	s_wait_alu 0xf1ff
	v_cndmask_b32_e64 v2, v2, v7, s0
	s_delay_alu instid0(VALU_DEP_3) | instskip(SKIP_3) | instid1(VALU_DEP_4)
	v_lshlrev_b32_e32 v28, v28, v23
	v_lshrrev_b32_e32 v7, 16, v14
	v_mul_f64_e32 v[13:14], s[10:11], v[17:18]
	v_add_co_u32 v17, s0, v19, s6
	v_cmp_ne_u32_e64 s1, v28, v25
	s_wait_alu 0xf1ff
	v_add_co_ci_u32_e64 v18, s0, s7, v20, s0
	v_and_or_b32 v2, 0x8000, v7, v2
	v_cmp_lt_i32_e64 s0, 5, v32
	v_cndmask_b32_e64 v7, 0, 1, s1
	v_cmp_eq_u32_e64 s1, 3, v32
	v_lshrrev_b32_e32 v21, 2, v21
	v_add_nc_u32_e32 v20, 0xfffffc10, v29
	v_and_or_b32 v19, 0x8000, v22, v27
	v_or_b32_e32 v7, v23, v7
	s_or_b32 s0, s1, s0
	s_wait_alu 0xfffe
	v_add_co_ci_u32_e64 v21, s0, 0, v21, s0
	v_cmp_ne_u32_e64 s0, 0, v15
	v_lshl_or_b32 v22, v20, 12, v26
	v_and_b32_e32 v19, 0xffff, v19
	s_wait_alu 0xf1ff
	s_delay_alu instid0(VALU_DEP_3) | instskip(SKIP_1) | instid1(VALU_DEP_3)
	v_cndmask_b32_e64 v15, 0, 1, s0
	v_cmp_gt_i32_e64 s0, 1, v20
	v_lshl_or_b32 v2, v2, 16, v19
	v_mul_f64_e32 v[10:11], s[10:11], v[10:11]
	s_delay_alu instid0(VALU_DEP_4) | instskip(SKIP_4) | instid1(VALU_DEP_3)
	v_lshl_or_b32 v15, v15, 9, 0x7c00
	s_wait_alu 0xf1ff
	v_cndmask_b32_e64 v7, v22, v7, s0
	v_cmp_gt_i32_e64 s0, 31, v24
	v_lshrrev_b32_e32 v22, 16, v9
	v_and_b32_e32 v19, 7, v7
	s_wait_alu 0xf1ff
	s_delay_alu instid0(VALU_DEP_3)
	v_cndmask_b32_e64 v21, 0x7c00, v21, s0
	v_cmp_eq_u32_e64 s0, 0x40f, v24
	v_lshrrev_b32_e32 v7, 2, v7
	v_and_or_b32 v13, 0x1ff, v14, v13
	v_cmp_eq_u32_e64 s1, 3, v19
	v_bfe_u32 v23, v14, 20, 11
	s_wait_alu 0xf1ff
	v_cndmask_b32_e64 v15, v21, v15, s0
	v_mul_f16_e32 v21, v71, v22
	v_cmp_lt_i32_e64 s0, 5, v19
	s_delay_alu instid0(VALU_DEP_3) | instskip(NEXT) | instid1(VALU_DEP_3)
	v_and_or_b32 v19, 0x8000, v16, v15
	v_fmac_f16_e32 v21, v70, v9
	s_delay_alu instid0(VALU_DEP_3)
	s_or_b32 s0, s1, s0
	v_mul_f16_e32 v9, v71, v9
	s_wait_alu 0xfffe
	v_add_co_ci_u32_e64 v7, s0, 0, v7, s0
	v_cvt_f32_f16_e32 v15, v21
	v_cmp_ne_u32_e64 s0, 0, v13
	v_lshrrev_b32_e32 v21, 8, v14
	v_fma_f16 v9, v70, v22, -v9
	v_and_b32_e32 v19, 0xffff, v19
	v_cvt_f64_f32_e32 v[15:16], v15
	s_wait_alu 0xf1ff
	v_cndmask_b32_e64 v13, 0, 1, s0
	v_cmp_ne_u32_e64 s0, 0, v26
	v_cvt_f32_f16_e32 v9, v9
	v_lshrrev_b32_e32 v14, 16, v14
	s_delay_alu instid0(VALU_DEP_4)
	v_and_or_b32 v21, 0xffe, v21, v13
	s_wait_alu 0xf1ff
	v_cndmask_b32_e64 v24, 0, 1, s0
	v_sub_nc_u32_e32 v13, 0x3f1, v23
	v_cmp_gt_i32_e64 s0, 31, v20
	v_add_nc_u32_e32 v23, 0xfffffc10, v23
	v_or_b32_e32 v25, 0x1000, v21
	v_lshl_or_b32 v24, v24, 9, 0x7c00
	v_med3_i32 v26, v13, 0, 13
	s_wait_alu 0xf1ff
	v_cndmask_b32_e64 v7, 0x7c00, v7, s0
	v_cmp_eq_u32_e64 s0, 0x40f, v20
	v_lshrrev_b32_e32 v20, 16, v12
	s_wait_alu 0xf1ff
	s_delay_alu instid0(VALU_DEP_2) | instskip(SKIP_4) | instid1(VALU_DEP_3)
	v_cndmask_b32_e64 v7, v7, v24, s0
	v_lshrrev_b32_e32 v24, v26, v25
	v_add_co_u32 v12, s0, v17, s6
	s_wait_alu 0xf1ff
	v_add_co_ci_u32_e64 v13, s0, s7, v18, s0
	v_lshlrev_b32_e32 v22, v26, v24
	v_and_or_b32 v7, 0x8000, v20, v7
	v_and_or_b32 v20, 0x1ff, v11, v10
	v_cvt_f64_f32_e32 v[9:10], v9
	v_bfe_u32 v26, v11, 20, 11
	v_cmp_ne_u32_e64 s0, v22, v25
	v_lshrrev_b32_e32 v25, 8, v11
	v_lshl_or_b32 v7, v7, 16, v19
	s_wait_alu 0xf1ff
	s_delay_alu instid0(VALU_DEP_3) | instskip(SKIP_2) | instid1(VALU_DEP_3)
	v_cndmask_b32_e64 v22, 0, 1, s0
	v_cmp_ne_u32_e64 s0, 0, v20
	v_mul_f64_e32 v[15:16], s[10:11], v[15:16]
	v_or_b32_e32 v19, v24, v22
	s_wait_alu 0xf1ff
	s_delay_alu instid0(VALU_DEP_3) | instskip(SKIP_2) | instid1(VALU_DEP_3)
	v_cndmask_b32_e64 v20, 0, 1, s0
	v_lshl_or_b32 v22, v23, 12, v21
	v_cmp_gt_i32_e64 s0, 1, v23
	v_and_or_b32 v24, 0xffe, v25, v20
	v_sub_nc_u32_e32 v20, 0x3f1, v26
	s_wait_alu 0xf1ff
	s_delay_alu instid0(VALU_DEP_3)
	v_cndmask_b32_e64 v22, v22, v19, s0
	v_add_co_u32 v19, s0, v12, s6
	v_or_b32_e32 v25, 0x1000, v24
	v_med3_i32 v27, v20, 0, 13
	s_wait_alu 0xf1ff
	v_add_co_ci_u32_e64 v20, s0, s7, v13, s0
	v_and_b32_e32 v29, 7, v22
	global_store_b32 v[17:18], v0, off
	global_store_b32 v[12:13], v2, off
	;; [unrolled: 1-line block ×3, first 2 shown]
	v_lshrrev_b32_e32 v28, v27, v25
	v_lshrrev_b32_e32 v2, 16, v6
	;; [unrolled: 1-line block ×3, first 2 shown]
	v_cmp_lt_i32_e64 s0, 5, v29
	v_cmp_eq_u32_e64 s1, 3, v29
	v_lshlrev_b32_e32 v0, v27, v28
	v_mul_f16_e32 v12, v69, v2
	v_add_nc_u32_e32 v17, 0xfffffc10, v26
	s_delay_alu instid0(VALU_DEP_4) | instskip(NEXT) | instid1(VALU_DEP_3)
	s_or_b32 s0, s1, s0
	v_cmp_ne_u32_e64 s2, v0, v25
	s_wait_alu 0xfffe
	v_add_co_ci_u32_e64 v7, s0, 0, v7, s0
	v_mul_f64_e32 v[9:10], s[10:11], v[9:10]
	v_fmac_f16_e32 v12, v67, v6
	s_wait_alu 0xf1ff
	v_cndmask_b32_e64 v0, 0, 1, s2
	v_cmp_ne_u32_e64 s0, 0, v21
	v_lshl_or_b32 v13, v17, 12, v24
	v_and_or_b32 v15, 0x1ff, v16, v15
	v_cvt_f32_f16_e32 v12, v12
	v_or_b32_e32 v0, v28, v0
	s_wait_alu 0xf1ff
	v_cndmask_b32_e64 v18, 0, 1, s0
	v_cmp_gt_i32_e64 s0, 1, v17
	v_cmp_ne_u32_e64 s1, 0, v15
	v_bfe_u32 v22, v16, 20, 11
	v_mul_f16_e32 v6, v69, v6
	v_lshl_or_b32 v18, v18, 9, 0x7c00
	s_wait_alu 0xf1ff
	v_cndmask_b32_e64 v0, v13, v0, s0
	v_cmp_gt_i32_e64 s0, 31, v23
	v_cvt_f64_f32_e32 v[12:13], v12
	v_cndmask_b32_e64 v15, 0, 1, s1
	v_fma_f16 v2, v67, v2, -v6
	v_and_b32_e32 v21, 7, v0
	s_wait_alu 0xf1ff
	v_cndmask_b32_e64 v7, 0x7c00, v7, s0
	v_cmp_eq_u32_e64 s0, 0x40f, v23
	v_lshrrev_b32_e32 v0, 2, v0
	v_cvt_f32_f16_e32 v2, v2
	v_cmp_eq_u32_e64 s1, 3, v21
	s_movk_i32 s2, 0xdf00
	s_wait_alu 0xf1ff
	v_cndmask_b32_e64 v7, v7, v18, s0
	v_cmp_lt_i32_e64 s0, 5, v21
	v_lshrrev_b32_e32 v18, 8, v16
	s_mov_b32 s3, -1
	s_delay_alu instid0(VALU_DEP_3) | instskip(NEXT) | instid1(VALU_DEP_3)
	v_and_or_b32 v14, 0x8000, v14, v7
	s_or_b32 s0, s1, s0
	s_delay_alu instid0(VALU_DEP_2)
	v_and_or_b32 v15, 0xffe, v18, v15
	s_wait_alu 0xfffe
	v_add_co_ci_u32_e64 v0, s0, 0, v0, s0
	v_sub_nc_u32_e32 v7, 0x3f1, v22
	v_cmp_ne_u32_e64 s0, 0, v24
	v_or_b32_e32 v21, 0x1000, v15
	v_and_or_b32 v9, 0x1ff, v10, v9
	v_lshrrev_b32_e32 v24, 8, v10
	v_med3_i32 v7, v7, 0, 13
	s_wait_alu 0xf1ff
	v_cndmask_b32_e64 v18, 0, 1, s0
	v_cmp_gt_i32_e64 s0, 31, v17
	v_bfe_u32 v25, v10, 20, 11
	v_and_b32_e32 v14, 0xffff, v14
	v_lshrrev_b32_e32 v23, v7, v21
	v_lshl_or_b32 v18, v18, 9, 0x7c00
	s_wait_alu 0xf1ff
	v_cndmask_b32_e64 v0, 0x7c00, v0, s0
	v_cmp_eq_u32_e64 s0, 0x40f, v17
	v_lshrrev_b32_e32 v17, 16, v11
	v_lshrrev_b32_e32 v10, 16, v10
	s_wait_alu 0xf1ff
	s_delay_alu instid0(VALU_DEP_3)
	v_cndmask_b32_e64 v0, v0, v18, s0
	v_lshlrev_b32_e32 v18, v7, v23
	v_cmp_ne_u32_e64 s0, 0, v9
	v_cvt_f64_f32_e32 v[6:7], v2
	v_mul_f64_e32 v[11:12], s[10:11], v[12:13]
	v_sub_nc_u32_e32 v13, 0x3f1, v25
	v_and_or_b32 v0, 0x8000, v17, v0
	s_wait_alu 0xf1ff
	v_cndmask_b32_e64 v9, 0, 1, s0
	v_cmp_ne_u32_e64 s0, v18, v21
	v_add_nc_u32_e32 v21, 0xfffffc10, v22
	v_med3_i32 v13, v13, 0, 13
	v_lshl_or_b32 v0, v0, 16, v14
	v_and_or_b32 v9, 0xffe, v24, v9
	s_wait_alu 0xf1ff
	v_cndmask_b32_e64 v2, 0, 1, s0
	v_lshl_or_b32 v17, v21, 12, v15
	v_cmp_gt_i32_e64 s0, 1, v21
	v_lshrrev_b32_e32 v24, 16, v5
	v_or_b32_e32 v18, 0x1000, v9
	v_or_b32_e32 v2, v23, v2
	s_wait_alu 0xf1ff
	s_delay_alu instid0(VALU_DEP_1) | instskip(NEXT) | instid1(VALU_DEP_3)
	v_cndmask_b32_e64 v2, v17, v2, s0
	v_lshrrev_b32_e32 v17, v13, v18
	s_mul_u64 s[0:1], s[4:5], s[2:3]
	v_cmp_eq_u32_e64 s2, 0x40f, v21
	s_wait_alu 0xfffe
	s_lshl_b64 s[4:5], s[0:1], 2
	v_and_b32_e32 v22, 7, v2
	v_lshlrev_b32_e32 v23, v13, v17
	s_wait_alu 0xfffe
	v_add_co_u32 v13, s0, v19, s4
	s_wait_alu 0xf1ff
	v_add_co_ci_u32_e64 v14, s0, s5, v20, s0
	v_cmp_ne_u32_e64 s1, v23, v18
	v_cmp_lt_i32_e64 s0, 5, v22
	v_lshrrev_b32_e32 v2, 2, v2
	v_mul_f16_e32 v19, v68, v24
	v_add_nc_u32_e32 v20, 0xfffffc10, v25
	s_wait_alu 0xf1ff
	v_cndmask_b32_e64 v18, 0, 1, s1
	v_cmp_eq_u32_e64 s1, 3, v22
	v_mul_f64_e32 v[6:7], s[10:11], v[6:7]
	v_fmac_f16_e32 v19, v65, v5
	v_and_or_b32 v11, 0x1ff, v12, v11
	v_or_b32_e32 v17, v17, v18
	s_or_b32 s0, s1, s0
	v_lshl_or_b32 v18, v20, 12, v9
	s_wait_alu 0xfffe
	v_add_co_ci_u32_e64 v2, s0, 0, v2, s0
	v_cmp_gt_i32_e64 s0, 1, v20
	v_cvt_f32_f16_e32 v19, v19
	v_bfe_u32 v23, v12, 20, 11
	v_mul_f16_e32 v5, v68, v5
	global_store_b32 v[13:14], v0, off
	s_wait_alu 0xf1ff
	v_cndmask_b32_e64 v22, v18, v17, s0
	v_cmp_ne_u32_e64 s0, 0, v11
	v_cvt_f64_f32_e32 v[17:18], v19
	v_lshrrev_b32_e32 v19, 8, v12
	v_fma_f16 v5, v65, v24, -v5
	v_and_b32_e32 v25, 7, v22
	s_wait_alu 0xf1ff
	v_cndmask_b32_e64 v11, 0, 1, s0
	v_cmp_ne_u32_e64 s0, 0, v15
	v_lshrrev_b32_e32 v22, 2, v22
	v_lshrrev_b32_e32 v12, 16, v12
	v_cmp_eq_u32_e64 s1, 3, v25
	v_and_or_b32 v11, 0xffe, v19, v11
	v_sub_nc_u32_e32 v19, 0x3f1, v23
	s_wait_alu 0xf1ff
	v_cndmask_b32_e64 v15, 0, 1, s0
	v_cmp_gt_i32_e64 s0, 31, v21
	v_add_nc_u32_e32 v23, 0xfffffc10, v23
	v_or_b32_e32 v26, 0x1000, v11
	v_med3_i32 v19, v19, 0, 13
	v_lshl_or_b32 v15, v15, 9, 0x7c00
	s_wait_alu 0xf1ff
	v_cndmask_b32_e64 v2, 0x7c00, v2, s0
	v_cmp_lt_i32_e64 s0, 5, v25
	v_lshrrev_b32_e32 v21, v19, v26
	s_delay_alu instid0(VALU_DEP_3) | instskip(NEXT) | instid1(VALU_DEP_3)
	v_cndmask_b32_e64 v2, v2, v15, s2
	s_or_b32 s0, s1, s0
	v_and_or_b32 v6, 0x1ff, v7, v6
	s_wait_alu 0xfffe
	v_add_co_ci_u32_e64 v15, s0, 0, v22, s0
	v_lshrrev_b32_e32 v22, 16, v16
	v_lshlrev_b32_e32 v16, v19, v21
	v_cmp_gt_i32_e64 s0, 31, v20
	v_bfe_u32 v27, v7, 20, 11
	s_delay_alu instid0(VALU_DEP_4) | instskip(SKIP_1) | instid1(VALU_DEP_3)
	v_and_or_b32 v2, 0x8000, v22, v2
	s_wait_alu 0xf1ff
	v_cndmask_b32_e64 v19, 0x7c00, v15, s0
	v_cmp_ne_u32_e64 s0, v16, v26
	v_cvt_f32_f16_e32 v15, v5
	v_lshrrev_b32_e32 v26, 8, v7
	v_and_b32_e32 v2, 0xffff, v2
	v_lshrrev_b32_e32 v7, 16, v7
	s_wait_alu 0xf1ff
	v_cndmask_b32_e64 v24, 0, 1, s0
	v_cmp_ne_u32_e64 s0, 0, v6
	v_cvt_f64_f32_e32 v[15:16], v15
	v_mul_f64_e32 v[5:6], s[10:11], v[17:18]
	v_sub_nc_u32_e32 v18, 0x3f1, v27
	v_or_b32_e32 v21, v21, v24
	s_wait_alu 0xf1ff
	v_cndmask_b32_e64 v25, 0, 1, s0
	v_cmp_ne_u32_e64 s0, 0, v9
	v_lshl_or_b32 v24, v23, 12, v11
	v_med3_i32 v18, v18, 0, 13
	s_delay_alu instid0(VALU_DEP_4) | instskip(SKIP_3) | instid1(VALU_DEP_3)
	v_and_or_b32 v17, 0xffe, v26, v25
	s_wait_alu 0xf1ff
	v_cndmask_b32_e64 v9, 0, 1, s0
	v_cmp_gt_i32_e64 s0, 1, v23
	v_or_b32_e32 v25, 0x1000, v17
	s_delay_alu instid0(VALU_DEP_3) | instskip(SKIP_1) | instid1(VALU_DEP_3)
	v_lshl_or_b32 v9, v9, 9, 0x7c00
	s_wait_alu 0xf1ff
	v_cndmask_b32_e64 v21, v24, v21, s0
	v_cmp_eq_u32_e64 s0, 0x40f, v20
	s_delay_alu instid0(VALU_DEP_2) | instskip(SKIP_1) | instid1(VALU_DEP_2)
	v_and_b32_e32 v20, 7, v21
	s_wait_alu 0xf1ff
	v_cndmask_b32_e64 v9, v19, v9, s0
	v_lshrrev_b32_e32 v19, v18, v25
	s_delay_alu instid0(VALU_DEP_3) | instskip(NEXT) | instid1(VALU_DEP_3)
	v_cmp_lt_i32_e64 s0, 5, v20
	v_and_or_b32 v0, 0x8000, v10, v9
	s_delay_alu instid0(VALU_DEP_3)
	v_lshlrev_b32_e32 v9, v18, v19
	v_cmp_eq_u32_e64 s1, 3, v20
	v_lshrrev_b32_e32 v10, 2, v21
	v_add_nc_u32_e32 v18, 0xfffffc10, v27
	v_lshl_or_b32 v2, v0, 16, v2
	v_cmp_ne_u32_e64 s2, v9, v25
	s_or_b32 s0, s1, s0
	s_wait_alu 0xfffe
	v_add_co_ci_u32_e64 v20, s0, 0, v10, s0
	s_delay_alu instid0(VALU_DEP_2)
	v_cndmask_b32_e64 v9, 0, 1, s2
	v_cmp_ne_u32_e64 s0, 0, v11
	v_lshl_or_b32 v10, v18, 12, v17
	v_and_or_b32 v5, 0x1ff, v6, v5
	v_cmp_eq_u32_e64 s2, 0x40f, v23
	v_or_b32_e32 v9, v19, v9
	s_wait_alu 0xf1ff
	v_cndmask_b32_e64 v11, 0, 1, s0
	v_cmp_gt_i32_e64 s0, 1, v18
	v_lshrrev_b32_e32 v19, 16, v4
	v_lshrrev_b32_e32 v22, 8, v6
	v_bfe_u32 v24, v6, 20, 11
	v_lshl_or_b32 v11, v11, 9, 0x7c00
	s_wait_alu 0xf1ff
	v_cndmask_b32_e64 v21, v10, v9, s0
	v_mul_f64_e32 v[9:10], s[10:11], v[15:16]
	v_mul_f16_e32 v15, v66, v19
	v_cmp_gt_i32_e64 s0, 31, v23
	v_lshrrev_b32_e32 v6, 16, v6
	v_and_b32_e32 v16, 7, v21
	s_delay_alu instid0(VALU_DEP_4)
	v_fmac_f16_e32 v15, v64, v4
	s_wait_alu 0xf1ff
	v_cndmask_b32_e64 v20, 0x7c00, v20, s0
	v_cmp_ne_u32_e64 s0, 0, v5
	v_cmp_eq_u32_e64 s1, 3, v16
	v_mul_f16_e32 v4, v66, v4
	v_cvt_f32_f16_e32 v15, v15
	v_cndmask_b32_e64 v11, v20, v11, s2
	s_wait_alu 0xf1ff
	v_cndmask_b32_e64 v5, 0, 1, s0
	v_cmp_lt_i32_e64 s0, 5, v16
	v_lshrrev_b32_e32 v20, 2, v21
	v_cvt_f64_f32_e32 v[15:16], v15
	v_fma_f16 v4, v64, v19, -v4
	v_and_or_b32 v22, 0xffe, v22, v5
	v_sub_nc_u32_e32 v5, 0x3f1, v24
	s_or_b32 s0, s1, s0
	v_and_or_b32 v25, 0x8000, v12, v11
	s_wait_alu 0xfffe
	v_add_co_ci_u32_e64 v20, s0, 0, v20, s0
	v_or_b32_e32 v21, 0x1000, v22
	v_med3_i32 v5, v5, 0, 13
	v_cmp_ne_u32_e64 s0, 0, v17
	v_cvt_f32_f16_e32 v4, v4
	v_add_nc_u32_e32 v19, 0xfffffc10, v24
	s_delay_alu instid0(VALU_DEP_4) | instskip(SKIP_3) | instid1(VALU_DEP_3)
	v_lshrrev_b32_e32 v23, v5, v21
	s_wait_alu 0xf1ff
	v_cndmask_b32_e64 v17, 0, 1, s0
	v_cmp_gt_i32_e64 s0, 31, v18
	v_lshlrev_b32_e32 v5, v5, v23
	s_delay_alu instid0(VALU_DEP_3) | instskip(SKIP_1) | instid1(VALU_DEP_3)
	v_lshl_or_b32 v17, v17, 9, 0x7c00
	s_wait_alu 0xf1ff
	v_cndmask_b32_e64 v20, 0x7c00, v20, s0
	v_cmp_eq_u32_e64 s0, 0x40f, v18
	v_and_or_b32 v9, 0x1ff, v10, v9
	v_lshrrev_b32_e32 v12, 8, v10
	v_bfe_u32 v18, v10, 20, 11
	v_lshrrev_b32_e32 v10, 16, v10
	s_wait_alu 0xf1ff
	v_cndmask_b32_e64 v17, v20, v17, s0
	v_cmp_ne_u32_e64 s0, v5, v21
	v_cvt_f64_f32_e32 v[4:5], v4
	v_lshl_or_b32 v20, v19, 12, v22
	v_sub_nc_u32_e32 v21, 0x3f1, v18
	v_and_or_b32 v0, 0x8000, v7, v17
	s_wait_alu 0xf1ff
	v_cndmask_b32_e64 v11, 0, 1, s0
	v_cmp_ne_u32_e64 s0, 0, v9
	v_and_b32_e32 v7, 0xffff, v25
	s_delay_alu instid0(VALU_DEP_3) | instskip(SKIP_1) | instid1(VALU_DEP_3)
	v_or_b32_e32 v11, v23, v11
	s_wait_alu 0xf1ff
	v_cndmask_b32_e64 v9, 0, 1, s0
	v_cmp_gt_i32_e64 s0, 1, v19
	v_lshl_or_b32 v23, v0, 16, v7
	v_lshrrev_b32_e32 v7, 16, v1
	s_delay_alu instid0(VALU_DEP_4)
	v_and_or_b32 v9, 0xffe, v12, v9
	s_wait_alu 0xf1ff
	v_cndmask_b32_e64 v20, v20, v11, s0
	v_mul_f64_e32 v[11:12], s[10:11], v[15:16]
	v_med3_i32 v16, v21, 0, 13
	v_add_co_u32 v13, s0, v13, s6
	v_or_b32_e32 v15, 0x1000, v9
	v_and_b32_e32 v17, 7, v20
	s_wait_alu 0xf1ff
	v_add_co_ci_u32_e64 v14, s0, s7, v14, s0
	s_delay_alu instid0(VALU_DEP_3) | instskip(NEXT) | instid1(VALU_DEP_3)
	v_lshrrev_b32_e32 v21, v16, v15
	v_cmp_lt_i32_e64 s0, 5, v17
	v_cmp_eq_u32_e64 s1, 3, v17
	s_delay_alu instid0(VALU_DEP_3) | instskip(SKIP_1) | instid1(VALU_DEP_3)
	v_lshlrev_b32_e32 v0, v16, v21
	v_lshrrev_b32_e32 v16, 2, v20
	s_or_b32 s0, s1, s0
	v_add_nc_u32_e32 v20, 0xfffffc10, v18
	s_delay_alu instid0(VALU_DEP_3)
	v_cmp_ne_u32_e64 s2, v0, v15
	s_wait_alu 0xfffe
	v_add_co_ci_u32_e64 v16, s0, 0, v16, s0
	v_mul_f16_e32 v15, v63, v7
	v_cmp_ne_u32_e64 s0, 0, v22
	s_wait_alu 0xf1ff
	v_cndmask_b32_e64 v0, 0, 1, s2
	v_lshl_or_b32 v17, v20, 12, v9
	v_mul_f64_e32 v[4:5], s[10:11], v[4:5]
	v_fmac_f16_e32 v15, v62, v1
	v_cndmask_b32_e64 v18, 0, 1, s0
	v_or_b32_e32 v0, v21, v0
	v_cmp_gt_i32_e64 s0, 1, v20
	s_delay_alu instid0(VALU_DEP_4) | instskip(NEXT) | instid1(VALU_DEP_4)
	v_cvt_f32_f16_e32 v15, v15
	v_lshl_or_b32 v22, v18, 9, 0x7c00
	s_wait_alu 0xf1ff
	s_delay_alu instid0(VALU_DEP_3) | instskip(SKIP_2) | instid1(VALU_DEP_3)
	v_cndmask_b32_e64 v0, v17, v0, s0
	v_cmp_gt_i32_e64 s0, 31, v19
	v_and_or_b32 v11, 0x1ff, v12, v11
	v_and_b32_e32 v24, 7, v0
	s_wait_alu 0xf1ff
	s_delay_alu instid0(VALU_DEP_3)
	v_cndmask_b32_e64 v21, 0x7c00, v16, s0
	v_cvt_f64_f32_e32 v[15:16], v15
	v_add_co_u32 v17, s0, v13, s6
	s_wait_alu 0xf1ff
	v_add_co_ci_u32_e64 v18, s0, s7, v14, s0
	v_cmp_eq_u32_e64 s0, 0x40f, v19
	v_cmp_ne_u32_e64 s1, 0, v11
	v_lshrrev_b32_e32 v0, 2, v0
	global_store_b32 v[13:14], v2, off
	global_store_b32 v[17:18], v23, off
	s_wait_alu 0xf1ff
	v_cndmask_b32_e64 v19, v21, v22, s0
	v_cmp_lt_i32_e64 s0, 5, v24
	v_cndmask_b32_e64 v11, 0, 1, s1
	v_cmp_eq_u32_e64 s1, 3, v24
	v_lshrrev_b32_e32 v21, 8, v12
	v_bfe_u32 v22, v12, 20, 11
	v_and_or_b32 v19, 0x8000, v6, v19
	v_lshrrev_b32_e32 v12, 16, v12
	s_or_b32 s0, s1, s0
	v_and_or_b32 v11, 0xffe, v21, v11
	s_wait_alu 0xfffe
	v_add_co_ci_u32_e64 v0, s0, 0, v0, s0
	v_cmp_ne_u32_e64 s0, 0, v9
	v_sub_nc_u32_e32 v21, 0x3f1, v22
	v_or_b32_e32 v24, 0x1000, v11
	v_and_or_b32 v4, 0x1ff, v5, v4
	v_lshrrev_b32_e32 v25, 8, v5
	s_wait_alu 0xf1ff
	v_cndmask_b32_e64 v9, 0, 1, s0
	v_cmp_gt_i32_e64 s0, 31, v20
	v_med3_i32 v21, v21, 0, 13
	v_bfe_u32 v26, v5, 20, 11
	v_lshrrev_b32_e32 v5, 16, v5
	v_lshl_or_b32 v9, v9, 9, 0x7c00
	s_wait_alu 0xf1ff
	v_cndmask_b32_e64 v0, 0x7c00, v0, s0
	v_cmp_eq_u32_e64 s0, 0x40f, v20
	v_lshrrev_b32_e32 v6, v21, v24
	s_wait_alu 0xf1ff
	s_delay_alu instid0(VALU_DEP_2) | instskip(SKIP_1) | instid1(VALU_DEP_3)
	v_cndmask_b32_e64 v9, v0, v9, s0
	v_cmp_ne_u32_e64 s0, 0, v4
	v_lshlrev_b32_e32 v20, v21, v6
	v_mul_f16_e32 v21, v63, v1
	v_mul_f64_e32 v[0:1], s[10:11], v[15:16]
	v_add_nc_u32_e32 v16, 0xfffffc10, v22
	s_wait_alu 0xf1ff
	v_cndmask_b32_e64 v4, 0, 1, s0
	v_cmp_ne_u32_e64 s0, v20, v24
	v_fma_f16 v7, v62, v7, -v21
	v_sub_nc_u32_e32 v20, 0x3f1, v26
	v_lshl_or_b32 v21, v16, 12, v11
	v_and_or_b32 v4, 0xffe, v25, v4
	s_wait_alu 0xf1ff
	v_cndmask_b32_e64 v15, 0, 1, s0
	v_cvt_f32_f16_e32 v7, v7
	v_med3_i32 v20, v20, 0, 13
	v_and_or_b32 v9, 0x8000, v10, v9
	v_or_b32_e32 v22, 0x1000, v4
	v_or_b32_e32 v15, v6, v15
	v_cvt_f64_f32_e32 v[6:7], v7
	v_and_b32_e32 v10, 0xffff, v19
	v_cmp_gt_i32_e64 s0, 1, v16
	v_lshrrev_b32_e32 v19, v20, v22
	v_cmp_eq_u32_e64 s2, 0x40f, v16
	s_wait_alu 0xf1ff
	s_delay_alu instid0(VALU_DEP_3) | instskip(NEXT) | instid1(VALU_DEP_3)
	v_cndmask_b32_e64 v15, v21, v15, s0
	v_lshlrev_b32_e32 v13, v20, v19
	v_lshl_or_b32 v21, v9, 16, v10
	v_add_co_u32 v9, s0, v17, s6
	s_delay_alu instid0(VALU_DEP_4) | instskip(NEXT) | instid1(VALU_DEP_4)
	v_and_b32_e32 v2, 7, v15
	v_cmp_ne_u32_e64 s1, v13, v22
	s_wait_alu 0xf1ff
	v_add_co_ci_u32_e64 v10, s0, s7, v18, s0
	v_lshrrev_b32_e32 v17, 16, v3
	v_cmp_lt_i32_e64 s0, 5, v2
	v_cndmask_b32_e64 v13, 0, 1, s1
	v_cmp_eq_u32_e64 s1, 3, v2
	v_lshrrev_b32_e32 v2, 2, v15
	v_add_nc_u32_e32 v18, 0xfffffc10, v26
	v_mul_f16_e32 v14, v61, v17
	v_or_b32_e32 v13, v19, v13
	s_or_b32 s0, s1, s0
	v_and_or_b32 v0, 0x1ff, v1, v0
	s_wait_alu 0xfffe
	v_add_co_ci_u32_e64 v2, s0, 0, v2, s0
	v_lshl_or_b32 v15, v18, 12, v4
	v_cmp_gt_i32_e64 s0, 1, v18
	v_fmac_f16_e32 v14, v60, v3
	v_lshrrev_b32_e32 v19, 8, v1
	v_bfe_u32 v20, v1, 20, 11
	v_lshrrev_b32_e32 v1, 16, v1
	s_wait_alu 0xf1ff
	v_cndmask_b32_e64 v15, v15, v13, s0
	v_cmp_ne_u32_e64 s0, 0, v0
	v_cvt_f32_f16_e32 v14, v14
	v_mul_f64_e32 v[6:7], s[10:11], v[6:7]
	s_delay_alu instid0(VALU_DEP_4)
	v_and_b32_e32 v22, 7, v15
	s_wait_alu 0xf1ff
	v_cndmask_b32_e64 v0, 0, 1, s0
	v_cmp_ne_u32_e64 s0, 0, v11
	v_cvt_f64_f32_e32 v[13:14], v14
	v_lshrrev_b32_e32 v15, 2, v15
	v_cmp_eq_u32_e64 s1, 3, v22
	v_and_or_b32 v0, 0xffe, v19, v0
	s_wait_alu 0xf1ff
	v_cndmask_b32_e64 v11, 0, 1, s0
	v_cmp_gt_i32_e64 s0, 31, v16
	v_sub_nc_u32_e32 v19, 0x3f1, v20
	v_or_b32_e32 v23, 0x1000, v0
	s_delay_alu instid0(VALU_DEP_4) | instskip(SKIP_4) | instid1(VALU_DEP_3)
	v_lshl_or_b32 v11, v11, 9, 0x7c00
	s_wait_alu 0xf1ff
	v_cndmask_b32_e64 v2, 0x7c00, v2, s0
	v_cmp_lt_i32_e64 s0, 5, v22
	v_med3_i32 v19, v19, 0, 13
	v_cndmask_b32_e64 v2, v2, v11, s2
	s_delay_alu instid0(VALU_DEP_3) | instskip(NEXT) | instid1(VALU_DEP_2)
	s_or_b32 s0, s1, s0
	v_lshrrev_b32_e32 v11, v19, v23
	s_wait_alu 0xfffe
	v_add_co_ci_u32_e64 v15, s0, 0, v15, s0
	v_cmp_ne_u32_e64 s0, 0, v4
	v_and_or_b32 v12, 0x8000, v12, v2
	v_lshlrev_b32_e32 v16, v19, v11
	v_add_nc_u32_e32 v19, 0xfffffc10, v20
	s_wait_alu 0xf1ff
	v_cndmask_b32_e64 v4, 0, 1, s0
	v_cmp_gt_i32_e64 s0, 31, v18
	v_and_b32_e32 v12, 0xffff, v12
	s_delay_alu instid0(VALU_DEP_3) | instskip(SKIP_1) | instid1(VALU_DEP_3)
	v_lshl_or_b32 v4, v4, 9, 0x7c00
	s_wait_alu 0xf1ff
	v_cndmask_b32_e64 v15, 0x7c00, v15, s0
	v_cmp_ne_u32_e64 s0, v16, v23
	v_and_or_b32 v6, 0x1ff, v7, v6
	s_wait_alu 0xf1ff
	s_delay_alu instid0(VALU_DEP_2) | instskip(SKIP_1) | instid1(VALU_DEP_2)
	v_cndmask_b32_e64 v16, 0, 1, s0
	v_cmp_eq_u32_e64 s0, 0x40f, v18
	v_or_b32_e32 v11, v11, v16
	s_wait_alu 0xf1ff
	s_delay_alu instid0(VALU_DEP_2)
	v_cndmask_b32_e64 v4, v15, v4, s0
	v_mul_f16_e32 v15, v61, v3
	v_mul_f64_e32 v[2:3], s[10:11], v[13:14]
	v_lshl_or_b32 v13, v19, 12, v0
	v_cmp_gt_i32_e64 s0, 1, v19
	v_and_or_b32 v16, 0x8000, v5, v4
	v_fma_f16 v14, v60, v17, -v15
	v_bfe_u32 v15, v7, 20, 11
	s_wait_alu 0xf1ff
	v_cndmask_b32_e64 v11, v13, v11, s0
	v_cmp_ne_u32_e64 s0, 0, v6
	v_cvt_f32_f16_e32 v13, v14
	v_lshrrev_b32_e32 v14, 8, v7
	s_delay_alu instid0(VALU_DEP_4)
	v_and_b32_e32 v17, 7, v11
	s_wait_alu 0xf1ff
	v_cndmask_b32_e64 v6, 0, 1, s0
	v_cvt_f64_f32_e32 v[4:5], v13
	v_sub_nc_u32_e32 v13, 0x3f1, v15
	v_lshrrev_b32_e32 v11, 2, v11
	v_cmp_lt_i32_e64 s0, 5, v17
	v_and_or_b32 v6, 0xffe, v14, v6
	v_lshrrev_b32_e32 v14, 16, v8
	v_cmp_eq_u32_e64 s1, 3, v17
	v_med3_i32 v13, v13, 0, 13
	v_lshl_or_b32 v17, v16, 16, v12
	v_or_b32_e32 v18, 0x1000, v6
	v_mul_f16_e32 v20, v59, v14
	s_or_b32 s0, s1, s0
	s_wait_alu 0xfffe
	v_add_co_ci_u32_e64 v11, s0, 0, v11, s0
	s_delay_alu instid0(VALU_DEP_2) | instskip(SKIP_3) | instid1(VALU_DEP_4)
	v_fmac_f16_e32 v20, v58, v8
	v_cmp_ne_u32_e64 s0, 0, v0
	v_lshrrev_b32_e32 v16, v13, v18
	v_mul_f16_e32 v8, v59, v8
	v_cvt_f32_f16_e32 v12, v20
	s_wait_alu 0xf1ff
	v_cndmask_b32_e64 v0, 0, 1, s0
	v_cmp_gt_i32_e64 s0, 31, v19
	v_lshlrev_b32_e32 v13, v13, v16
	v_and_or_b32 v2, 0x1ff, v3, v2
	v_bfe_u32 v22, v3, 20, 11
	v_fma_f16 v8, v58, v14, -v8
	s_wait_alu 0xf1ff
	v_cndmask_b32_e64 v20, 0x7c00, v11, s0
	v_cvt_f64_f32_e32 v[11:12], v12
	v_cmp_ne_u32_e64 s0, v13, v18
	v_add_nc_u32_e32 v18, 0xfffffc10, v15
	v_lshrrev_b32_e32 v15, 8, v3
	v_cvt_f32_f16_e32 v8, v8
	v_lshl_or_b32 v0, v0, 9, 0x7c00
	s_wait_alu 0xf1ff
	v_cndmask_b32_e64 v13, 0, 1, s0
	v_cmp_ne_u32_e64 s0, 0, v2
	v_lshl_or_b32 v14, v18, 12, v6
	v_lshrrev_b32_e32 v3, 16, v3
	v_mul_f64_e32 v[4:5], s[10:11], v[4:5]
	v_or_b32_e32 v13, v16, v13
	s_wait_alu 0xf1ff
	v_cndmask_b32_e64 v2, 0, 1, s0
	v_cmp_gt_i32_e64 s0, 1, v18
	s_delay_alu instid0(VALU_DEP_2) | instskip(SKIP_2) | instid1(VALU_DEP_3)
	v_and_or_b32 v2, 0xffe, v15, v2
	v_sub_nc_u32_e32 v15, 0x3f1, v22
	s_wait_alu 0xf1ff
	v_cndmask_b32_e64 v23, v14, v13, s0
	v_cmp_eq_u32_e64 s0, 0x40f, v19
	v_cvt_f64_f32_e32 v[13:14], v8
	v_or_b32_e32 v24, 0x1000, v2
	v_med3_i32 v25, v15, 0, 13
	v_and_b32_e32 v8, 7, v23
	s_wait_alu 0xf1ff
	v_cndmask_b32_e64 v0, v20, v0, s0
	v_add_co_u32 v15, s0, v9, s6
	v_lshrrev_b32_e32 v19, v25, v24
	s_wait_alu 0xf1ff
	v_add_co_ci_u32_e64 v16, s0, s7, v10, s0
	v_cmp_lt_i32_e64 s0, 5, v8
	v_cmp_eq_u32_e64 s1, 3, v8
	v_lshrrev_b32_e32 v8, 2, v23
	v_lshlrev_b32_e32 v20, v25, v19
	v_and_or_b32 v25, 0x8000, v1, v0
	v_add_nc_u32_e32 v22, 0xfffffc10, v22
	s_or_b32 s0, s1, s0
	v_mul_f64_e32 v[0:1], s[10:11], v[11:12]
	s_wait_alu 0xfffe
	v_add_co_ci_u32_e64 v8, s0, 0, v8, s0
	v_cmp_ne_u32_e64 s2, v20, v24
	v_cmp_ne_u32_e64 s0, 0, v6
	v_lshl_or_b32 v12, v22, 12, v2
	s_wait_alu 0xf1ff
	s_delay_alu instid0(VALU_DEP_3) | instskip(NEXT) | instid1(VALU_DEP_3)
	v_cndmask_b32_e64 v20, 0, 1, s2
	v_cndmask_b32_e64 v6, 0, 1, s0
	v_cmp_gt_i32_e64 s0, 31, v18
	v_and_or_b32 v4, 0x1ff, v5, v4
	s_delay_alu instid0(VALU_DEP_4) | instskip(NEXT) | instid1(VALU_DEP_4)
	v_or_b32_e32 v11, v19, v20
	v_lshl_or_b32 v6, v6, 9, 0x7c00
	s_wait_alu 0xf1ff
	v_cndmask_b32_e64 v8, 0x7c00, v8, s0
	v_cmp_gt_i32_e64 s0, 1, v22
	v_lshrrev_b32_e32 v19, 8, v5
	s_wait_alu 0xf1ff
	s_delay_alu instid0(VALU_DEP_2) | instskip(SKIP_2) | instid1(VALU_DEP_3)
	v_cndmask_b32_e64 v11, v12, v11, s0
	v_cmp_eq_u32_e64 s0, 0x40f, v18
	v_lshrrev_b32_e32 v12, 16, v7
	v_and_b32_e32 v18, 7, v11
	s_wait_alu 0xf1ff
	s_delay_alu instid0(VALU_DEP_3)
	v_cndmask_b32_e64 v8, v8, v6, s0
	v_cmp_ne_u32_e64 s0, 0, v4
	v_mul_f64_e32 v[6:7], s[10:11], v[13:14]
	v_bfe_u32 v13, v5, 20, 11
	v_cmp_eq_u32_e64 s1, 3, v18
	v_lshrrev_b32_e32 v11, 2, v11
	s_wait_alu 0xf1ff
	v_cndmask_b32_e64 v4, 0, 1, s0
	v_cmp_lt_i32_e64 s0, 5, v18
	v_and_or_b32 v8, 0x8000, v12, v8
	v_and_b32_e32 v12, 0xffff, v25
	v_sub_nc_u32_e32 v14, 0x3f1, v13
	v_and_or_b32 v4, 0xffe, v19, v4
	s_or_b32 s0, s1, s0
	v_and_or_b32 v0, 0x1ff, v1, v0
	s_wait_alu 0xfffe
	v_add_co_ci_u32_e64 v11, s0, 0, v11, s0
	v_lshl_or_b32 v8, v8, 16, v12
	v_or_b32_e32 v12, 0x1000, v4
	v_med3_i32 v14, v14, 0, 13
	v_cmp_ne_u32_e64 s0, 0, v2
	v_lshrrev_b32_e32 v19, 8, v1
	v_bfe_u32 v20, v1, 20, 11
	v_add_nc_u32_e32 v13, 0xfffffc10, v13
	v_lshrrev_b32_e32 v18, v14, v12
	s_wait_alu 0xf1ff
	v_cndmask_b32_e64 v2, 0, 1, s0
	v_cmp_gt_i32_e64 s0, 31, v22
	v_lshrrev_b32_e32 v5, 16, v5
	v_lshrrev_b32_e32 v1, 16, v1
	v_lshlrev_b32_e32 v14, v14, v18
	v_lshl_or_b32 v2, v2, 9, 0x7c00
	s_wait_alu 0xf1ff
	v_cndmask_b32_e64 v11, 0x7c00, v11, s0
	v_cmp_ne_u32_e64 s0, 0, v0
	s_wait_alu 0xf1ff
	s_delay_alu instid0(VALU_DEP_1) | instskip(SKIP_3) | instid1(VALU_DEP_4)
	v_cndmask_b32_e64 v0, 0, 1, s0
	v_cmp_ne_u32_e64 s0, v14, v12
	v_sub_nc_u32_e32 v14, 0x3f1, v20
	v_and_or_b32 v6, 0x1ff, v7, v6
	v_and_or_b32 v0, 0xffe, v19, v0
	s_wait_alu 0xf1ff
	v_cndmask_b32_e64 v12, 0, 1, s0
	v_cmp_eq_u32_e64 s0, 0x40f, v22
	v_med3_i32 v14, v14, 0, 13
	v_lshrrev_b32_e32 v19, 8, v7
	v_bfe_u32 v22, v7, 20, 11
	s_wait_alu 0xf1ff
	v_cndmask_b32_e64 v2, v11, v2, s0
	v_or_b32_e32 v11, v18, v12
	v_lshl_or_b32 v12, v13, 12, v4
	v_or_b32_e32 v18, 0x1000, v0
	v_cmp_gt_i32_e64 s0, 1, v13
	v_and_or_b32 v2, 0x8000, v3, v2
	s_wait_alu 0xf1ff
	s_delay_alu instid0(VALU_DEP_2) | instskip(SKIP_2) | instid1(VALU_DEP_3)
	v_cndmask_b32_e64 v11, v12, v11, s0
	v_lshrrev_b32_e32 v12, v14, v18
	v_cmp_ne_u32_e64 s0, 0, v6
	v_and_b32_e32 v23, 7, v11
	s_delay_alu instid0(VALU_DEP_3) | instskip(SKIP_1) | instid1(VALU_DEP_3)
	v_lshlrev_b32_e32 v14, v14, v12
	s_wait_alu 0xf1ff
	v_cndmask_b32_e64 v6, 0, 1, s0
	v_lshrrev_b32_e32 v11, 2, v11
	v_cmp_lt_i32_e64 s0, 5, v23
	v_cmp_ne_u32_e64 s1, v14, v18
	s_delay_alu instid0(VALU_DEP_4)
	v_and_or_b32 v3, 0xffe, v19, v6
	v_sub_nc_u32_e32 v6, 0x3f1, v22
	v_add_nc_u32_e32 v19, 0xfffffc10, v20
	s_wait_alu 0xf1ff
	v_cndmask_b32_e64 v14, 0, 1, s1
	v_cmp_eq_u32_e64 s1, 3, v23
	v_or_b32_e32 v18, 0x1000, v3
	v_med3_i32 v6, v6, 0, 13
	v_lshl_or_b32 v20, v19, 12, v0
	v_or_b32_e32 v12, v12, v14
	s_or_b32 s0, s1, s0
	s_wait_alu 0xfffe
	v_add_co_ci_u32_e64 v11, s0, 0, v11, s0
	v_lshrrev_b32_e32 v14, v6, v18
	v_cmp_gt_i32_e64 s0, 1, v19
	s_delay_alu instid0(VALU_DEP_2) | instskip(SKIP_1) | instid1(VALU_DEP_2)
	v_lshlrev_b32_e32 v6, v6, v14
	s_wait_alu 0xf1ff
	v_cndmask_b32_e64 v12, v20, v12, s0
	v_cmp_ne_u32_e64 s0, 0, v4
	s_delay_alu instid0(VALU_DEP_2) | instskip(SKIP_1) | instid1(VALU_DEP_2)
	v_and_b32_e32 v20, 7, v12
	s_wait_alu 0xf1ff
	v_cndmask_b32_e64 v4, 0, 1, s0
	v_cmp_ne_u32_e64 s0, v6, v18
	v_add_nc_u32_e32 v18, 0xfffffc10, v22
	v_cmp_eq_u32_e64 s1, 3, v20
	s_delay_alu instid0(VALU_DEP_4) | instskip(SKIP_4) | instid1(VALU_DEP_3)
	v_lshl_or_b32 v4, v4, 9, 0x7c00
	s_wait_alu 0xf1ff
	v_cndmask_b32_e64 v6, 0, 1, s0
	v_cmp_gt_i32_e64 s0, 31, v13
	v_cmp_gt_i32_e64 s2, 1, v18
	v_or_b32_e32 v6, v14, v6
	v_lshl_or_b32 v14, v18, 12, v3
	s_wait_alu 0xf1ff
	v_cndmask_b32_e64 v11, 0x7c00, v11, s0
	v_cmp_lt_i32_e64 s0, 5, v20
	s_delay_alu instid0(VALU_DEP_3) | instskip(SKIP_1) | instid1(VALU_DEP_3)
	v_cndmask_b32_e64 v6, v14, v6, s2
	v_cmp_eq_u32_e64 s2, 0x40f, v13
	s_or_b32 s0, s1, s0
	s_delay_alu instid0(VALU_DEP_1)
	v_cndmask_b32_e64 v4, v11, v4, s2
	v_lshrrev_b32_e32 v11, 2, v12
	v_and_b32_e32 v12, 7, v6
	v_lshrrev_b32_e32 v6, 2, v6
	v_cmp_gt_i32_e64 s2, 31, v19
	v_and_or_b32 v4, 0x8000, v5, v4
	s_wait_alu 0xfffe
	v_add_co_ci_u32_e64 v11, s0, 0, v11, s0
	v_cmp_ne_u32_e64 s0, 0, v0
	v_cmp_eq_u32_e64 s1, 3, v12
	v_and_b32_e32 v5, 0xffff, v2
	s_wait_alu 0xf1ff
	v_cndmask_b32_e64 v11, 0x7c00, v11, s2
	v_cndmask_b32_e64 v0, 0, 1, s0
	v_cmp_lt_i32_e64 s0, 5, v12
	s_delay_alu instid0(VALU_DEP_2) | instskip(NEXT) | instid1(VALU_DEP_2)
	v_lshl_or_b32 v0, v0, 9, 0x7c00
	s_or_b32 s0, s1, s0
	s_wait_alu 0xfffe
	v_add_co_ci_u32_e64 v6, s0, 0, v6, s0
	v_cmp_ne_u32_e64 s0, 0, v3
	s_wait_alu 0xf1ff
	s_delay_alu instid0(VALU_DEP_1) | instskip(SKIP_1) | instid1(VALU_DEP_2)
	v_cndmask_b32_e64 v3, 0, 1, s0
	v_cmp_eq_u32_e64 s0, 0x40f, v19
	v_lshl_or_b32 v3, v3, 9, 0x7c00
	s_wait_alu 0xf1ff
	s_delay_alu instid0(VALU_DEP_2) | instskip(SKIP_1) | instid1(VALU_DEP_2)
	v_cndmask_b32_e64 v0, v11, v0, s0
	v_cmp_gt_i32_e64 s0, 31, v18
	v_and_or_b32 v0, 0x8000, v1, v0
	s_wait_alu 0xf1ff
	s_delay_alu instid0(VALU_DEP_2) | instskip(SKIP_1) | instid1(VALU_DEP_3)
	v_cndmask_b32_e64 v6, 0x7c00, v6, s0
	v_cmp_eq_u32_e64 s0, 0x40f, v18
	v_and_b32_e32 v0, 0xffff, v0
	s_wait_alu 0xf1ff
	s_delay_alu instid0(VALU_DEP_2)
	v_cndmask_b32_e64 v1, v6, v3, s0
	v_lshrrev_b32_e32 v6, 16, v7
	v_add_co_u32 v2, s0, v15, s6
	s_wait_alu 0xf1ff
	v_add_co_ci_u32_e64 v3, s0, s7, v16, s0
	v_lshl_or_b32 v7, v4, 16, v5
	v_and_or_b32 v1, 0x8000, v6, v1
	v_add_co_u32 v4, s0, v2, s6
	s_wait_alu 0xf1ff
	v_add_co_ci_u32_e64 v5, s0, s7, v3, s0
	s_delay_alu instid0(VALU_DEP_3) | instskip(NEXT) | instid1(VALU_DEP_3)
	v_lshl_or_b32 v6, v1, 16, v0
	v_add_co_u32 v0, s0, v4, s6
	s_wait_alu 0xf1ff
	s_delay_alu instid0(VALU_DEP_3)
	v_add_co_ci_u32_e64 v1, s0, s7, v5, s0
	global_store_b32 v[9:10], v21, off
	global_store_b32 v[15:16], v17, off
	;; [unrolled: 1-line block ×5, first 2 shown]
	s_and_b32 exec_lo, exec_lo, vcc_lo
	s_cbranch_execz .LBB0_15
; %bb.14:
	global_load_b32 v4, v[30:31], off offset:4096
	ds_load_2addr_stride64_b32 v[2:3], v57 offset0:16 offset1:36
	s_wait_dscnt 0x0
	v_lshrrev_b32_e32 v5, 16, v2
	s_wait_loadcnt 0x0
	v_lshrrev_b32_e32 v6, 16, v4
	s_delay_alu instid0(VALU_DEP_1) | instskip(SKIP_1) | instid1(VALU_DEP_2)
	v_mul_f16_e32 v7, v5, v6
	v_mul_f16_e32 v6, v2, v6
	v_fmac_f16_e32 v7, v2, v4
	s_delay_alu instid0(VALU_DEP_2) | instskip(NEXT) | instid1(VALU_DEP_2)
	v_fma_f16 v2, v4, v5, -v6
	v_cvt_f32_f16_e32 v4, v7
	s_delay_alu instid0(VALU_DEP_2) | instskip(NEXT) | instid1(VALU_DEP_2)
	v_cvt_f32_f16_e32 v2, v2
	v_cvt_f64_f32_e32 v[4:5], v4
	s_delay_alu instid0(VALU_DEP_2) | instskip(NEXT) | instid1(VALU_DEP_2)
	v_cvt_f64_f32_e32 v[6:7], v2
	v_mul_f64_e32 v[4:5], s[10:11], v[4:5]
	s_delay_alu instid0(VALU_DEP_2) | instskip(NEXT) | instid1(VALU_DEP_2)
	v_mul_f64_e32 v[6:7], s[10:11], v[6:7]
	v_and_or_b32 v2, 0x1ff, v5, v4
	s_delay_alu instid0(VALU_DEP_2)
	v_and_or_b32 v6, 0x1ff, v7, v6
	v_lshrrev_b32_e32 v4, 8, v5
	v_bfe_u32 v8, v5, 20, 11
	v_lshrrev_b32_e32 v9, 8, v7
	v_cmp_ne_u32_e32 vcc_lo, 0, v2
	v_bfe_u32 v10, v7, 20, 11
	v_lshrrev_b32_e32 v5, 16, v5
	v_sub_nc_u32_e32 v11, 0x3f1, v8
	v_add_nc_u32_e32 v8, 0xfffffc10, v8
	s_wait_alu 0xfffd
	v_cndmask_b32_e64 v2, 0, 1, vcc_lo
	v_cmp_ne_u32_e32 vcc_lo, 0, v6
	v_lshrrev_b32_e32 v7, 16, v7
	s_delay_alu instid0(VALU_DEP_3) | instskip(SKIP_4) | instid1(VALU_DEP_3)
	v_and_or_b32 v2, 0xffe, v4, v2
	s_wait_alu 0xfffd
	v_cndmask_b32_e64 v6, 0, 1, vcc_lo
	v_sub_nc_u32_e32 v4, 0x3f1, v10
	v_add_nc_u32_e32 v10, 0xfffffc10, v10
	v_and_or_b32 v6, 0xffe, v9, v6
	v_med3_i32 v9, v11, 0, 13
	v_or_b32_e32 v11, 0x1000, v2
	v_med3_i32 v4, v4, 0, 13
	s_delay_alu instid0(VALU_DEP_4) | instskip(NEXT) | instid1(VALU_DEP_3)
	v_or_b32_e32 v12, 0x1000, v6
	v_lshrrev_b32_e32 v13, v9, v11
	s_delay_alu instid0(VALU_DEP_2) | instskip(NEXT) | instid1(VALU_DEP_2)
	v_lshrrev_b32_e32 v14, v4, v12
	v_lshlrev_b32_e32 v9, v9, v13
	s_delay_alu instid0(VALU_DEP_1) | instskip(SKIP_3) | instid1(VALU_DEP_1)
	v_cmp_ne_u32_e32 vcc_lo, v9, v11
	v_lshl_or_b32 v11, v8, 12, v2
	s_wait_alu 0xfffd
	v_cndmask_b32_e64 v9, 0, 1, vcc_lo
	v_or_b32_e32 v9, v13, v9
	v_lshlrev_b32_e32 v4, v4, v14
	s_delay_alu instid0(VALU_DEP_1) | instskip(SKIP_4) | instid1(VALU_DEP_2)
	v_cmp_ne_u32_e32 vcc_lo, v4, v12
	v_lshl_or_b32 v12, v10, 12, v6
	s_wait_alu 0xfffd
	v_cndmask_b32_e64 v4, 0, 1, vcc_lo
	v_cmp_gt_i32_e32 vcc_lo, 1, v8
	v_or_b32_e32 v4, v14, v4
	s_wait_alu 0xfffd
	v_cndmask_b32_e32 v9, v11, v9, vcc_lo
	v_cmp_gt_i32_e32 vcc_lo, 1, v10
	s_wait_alu 0xfffd
	s_delay_alu instid0(VALU_DEP_2) | instskip(SKIP_2) | instid1(VALU_DEP_3)
	v_dual_cndmask_b32 v4, v12, v4 :: v_dual_and_b32 v11, 7, v9
	v_cmp_ne_u32_e32 vcc_lo, 0, v2
	v_lshrrev_b32_e32 v9, 2, v9
	v_cmp_eq_u32_e64 s0, 3, v11
	s_wait_alu 0xfffd
	v_cndmask_b32_e64 v2, 0, 1, vcc_lo
	v_cmp_ne_u32_e32 vcc_lo, 0, v6
	s_delay_alu instid0(VALU_DEP_2) | instskip(SKIP_3) | instid1(VALU_DEP_2)
	v_lshl_or_b32 v2, v2, 9, 0x7c00
	s_wait_alu 0xfffd
	v_cndmask_b32_e64 v6, 0, 1, vcc_lo
	v_cmp_lt_i32_e32 vcc_lo, 5, v11
	v_lshl_or_b32 v6, v6, 9, 0x7c00
	s_or_b32 vcc_lo, s0, vcc_lo
	s_wait_alu 0xfffe
	v_add_co_ci_u32_e32 v9, vcc_lo, 0, v9, vcc_lo
	v_and_b32_e32 v12, 7, v4
	v_lshrrev_b32_e32 v4, 2, v4
	s_delay_alu instid0(VALU_DEP_2) | instskip(SKIP_1) | instid1(VALU_DEP_1)
	v_cmp_lt_i32_e64 s1, 5, v12
	v_cmp_eq_u32_e64 s2, 3, v12
	s_or_b32 vcc_lo, s2, s1
	s_wait_alu 0xfffe
	v_add_co_ci_u32_e32 v4, vcc_lo, 0, v4, vcc_lo
	v_cmp_gt_i32_e32 vcc_lo, 31, v8
	s_wait_alu 0xfffd
	v_cndmask_b32_e32 v9, 0x7c00, v9, vcc_lo
	v_cmp_gt_i32_e32 vcc_lo, 31, v10
	s_wait_alu 0xfffd
	v_cndmask_b32_e32 v4, 0x7c00, v4, vcc_lo
	v_cmp_eq_u32_e32 vcc_lo, 0x40f, v8
	s_wait_alu 0xfffd
	v_cndmask_b32_e32 v2, v9, v2, vcc_lo
	v_cmp_eq_u32_e32 vcc_lo, 0x40f, v10
	s_delay_alu instid0(VALU_DEP_2)
	v_and_or_b32 v2, 0x8000, v5, v2
	s_wait_alu 0xfffd
	v_cndmask_b32_e32 v4, v4, v6, vcc_lo
	v_add_co_u32 v0, vcc_lo, v0, s4
	s_wait_alu 0xfffd
	v_add_co_ci_u32_e32 v1, vcc_lo, s5, v1, vcc_lo
	s_delay_alu instid0(VALU_DEP_3) | instskip(SKIP_1) | instid1(VALU_DEP_1)
	v_and_or_b32 v4, 0x8000, v7, v4
	v_and_b32_e32 v2, 0xffff, v2
	v_lshl_or_b32 v2, v4, 16, v2
	v_lshrrev_b32_e32 v4, 16, v3
	global_store_b32 v[0:1], v2, off
	global_load_b32 v2, v[30:31], off offset:9216
	s_wait_loadcnt 0x0
	v_lshrrev_b32_e32 v5, 16, v2
	s_delay_alu instid0(VALU_DEP_1) | instskip(SKIP_1) | instid1(VALU_DEP_2)
	v_mul_f16_e32 v6, v4, v5
	v_mul_f16_e32 v5, v3, v5
	v_fmac_f16_e32 v6, v3, v2
	s_delay_alu instid0(VALU_DEP_2) | instskip(NEXT) | instid1(VALU_DEP_2)
	v_fma_f16 v2, v2, v4, -v5
	v_cvt_f32_f16_e32 v3, v6
	s_delay_alu instid0(VALU_DEP_2) | instskip(NEXT) | instid1(VALU_DEP_2)
	v_cvt_f32_f16_e32 v4, v2
	v_cvt_f64_f32_e32 v[2:3], v3
	s_delay_alu instid0(VALU_DEP_2) | instskip(NEXT) | instid1(VALU_DEP_2)
	v_cvt_f64_f32_e32 v[4:5], v4
	v_mul_f64_e32 v[2:3], s[10:11], v[2:3]
	s_delay_alu instid0(VALU_DEP_2) | instskip(NEXT) | instid1(VALU_DEP_2)
	v_mul_f64_e32 v[4:5], s[10:11], v[4:5]
	v_and_or_b32 v2, 0x1ff, v3, v2
	s_delay_alu instid0(VALU_DEP_2)
	v_and_or_b32 v4, 0x1ff, v5, v4
	v_lshrrev_b32_e32 v6, 8, v3
	v_bfe_u32 v7, v3, 20, 11
	v_lshrrev_b32_e32 v8, 8, v5
	v_cmp_ne_u32_e32 vcc_lo, 0, v2
	v_bfe_u32 v9, v5, 20, 11
	v_lshrrev_b32_e32 v3, 16, v3
	v_sub_nc_u32_e32 v10, 0x3f1, v7
	v_add_nc_u32_e32 v7, 0xfffffc10, v7
	s_wait_alu 0xfffd
	v_cndmask_b32_e64 v2, 0, 1, vcc_lo
	v_cmp_ne_u32_e32 vcc_lo, 0, v4
	v_lshrrev_b32_e32 v5, 16, v5
	s_delay_alu instid0(VALU_DEP_3) | instskip(SKIP_4) | instid1(VALU_DEP_3)
	v_and_or_b32 v2, 0xffe, v6, v2
	s_wait_alu 0xfffd
	v_cndmask_b32_e64 v4, 0, 1, vcc_lo
	v_sub_nc_u32_e32 v6, 0x3f1, v9
	v_add_nc_u32_e32 v9, 0xfffffc10, v9
	v_and_or_b32 v4, 0xffe, v8, v4
	v_med3_i32 v8, v10, 0, 13
	v_or_b32_e32 v10, 0x1000, v2
	v_med3_i32 v6, v6, 0, 13
	s_delay_alu instid0(VALU_DEP_4) | instskip(NEXT) | instid1(VALU_DEP_3)
	v_or_b32_e32 v11, 0x1000, v4
	v_lshrrev_b32_e32 v12, v8, v10
	s_delay_alu instid0(VALU_DEP_2) | instskip(NEXT) | instid1(VALU_DEP_2)
	v_lshrrev_b32_e32 v13, v6, v11
	v_lshlrev_b32_e32 v8, v8, v12
	s_delay_alu instid0(VALU_DEP_2) | instskip(NEXT) | instid1(VALU_DEP_2)
	v_lshlrev_b32_e32 v6, v6, v13
	v_cmp_ne_u32_e32 vcc_lo, v8, v10
	v_lshl_or_b32 v10, v7, 12, v2
	s_wait_alu 0xfffd
	v_cndmask_b32_e64 v8, 0, 1, vcc_lo
	v_cmp_ne_u32_e32 vcc_lo, v6, v11
	v_lshl_or_b32 v11, v9, 12, v4
	s_delay_alu instid0(VALU_DEP_3) | instskip(SKIP_3) | instid1(VALU_DEP_2)
	v_or_b32_e32 v8, v12, v8
	s_wait_alu 0xfffd
	v_cndmask_b32_e64 v6, 0, 1, vcc_lo
	v_cmp_gt_i32_e32 vcc_lo, 1, v7
	v_or_b32_e32 v6, v13, v6
	s_wait_alu 0xfffd
	v_cndmask_b32_e32 v8, v10, v8, vcc_lo
	v_cmp_gt_i32_e32 vcc_lo, 1, v9
	s_wait_alu 0xfffd
	v_cndmask_b32_e32 v6, v11, v6, vcc_lo
	v_cmp_ne_u32_e32 vcc_lo, 0, v2
	s_delay_alu instid0(VALU_DEP_2)
	v_and_b32_e32 v11, 7, v6
	s_wait_alu 0xfffd
	v_cndmask_b32_e64 v2, 0, 1, vcc_lo
	v_and_b32_e32 v10, 7, v8
	v_cmp_ne_u32_e32 vcc_lo, 0, v4
	v_lshrrev_b32_e32 v8, 2, v8
	v_cmp_lt_i32_e64 s1, 5, v11
	v_cmp_eq_u32_e64 s2, 3, v11
	v_cmp_eq_u32_e64 s0, 3, v10
	s_wait_alu 0xfffd
	v_cndmask_b32_e64 v4, 0, 1, vcc_lo
	v_cmp_lt_i32_e32 vcc_lo, 5, v10
	v_lshrrev_b32_e32 v6, 2, v6
	v_lshl_or_b32 v2, v2, 9, 0x7c00
	s_delay_alu instid0(VALU_DEP_4)
	v_lshl_or_b32 v4, v4, 9, 0x7c00
	s_or_b32 vcc_lo, s0, vcc_lo
	s_wait_alu 0xfffe
	v_add_co_ci_u32_e32 v8, vcc_lo, 0, v8, vcc_lo
	s_or_b32 vcc_lo, s2, s1
	s_wait_alu 0xfffe
	v_add_co_ci_u32_e32 v6, vcc_lo, 0, v6, vcc_lo
	v_cmp_gt_i32_e32 vcc_lo, 31, v7
	s_wait_alu 0xfffd
	v_cndmask_b32_e32 v8, 0x7c00, v8, vcc_lo
	v_cmp_gt_i32_e32 vcc_lo, 31, v9
	s_wait_alu 0xfffd
	v_cndmask_b32_e32 v6, 0x7c00, v6, vcc_lo
	v_cmp_eq_u32_e32 vcc_lo, 0x40f, v7
	s_wait_alu 0xfffd
	v_cndmask_b32_e32 v2, v8, v2, vcc_lo
	v_cmp_eq_u32_e32 vcc_lo, 0x40f, v9
	s_delay_alu instid0(VALU_DEP_2)
	v_and_or_b32 v2, 0x8000, v3, v2
	s_wait_alu 0xfffd
	v_cndmask_b32_e32 v4, v6, v4, vcc_lo
	v_add_co_u32 v0, vcc_lo, v0, s6
	s_wait_alu 0xfffd
	v_add_co_ci_u32_e32 v1, vcc_lo, s7, v1, vcc_lo
	s_delay_alu instid0(VALU_DEP_3) | instskip(SKIP_1) | instid1(VALU_DEP_1)
	v_and_or_b32 v3, 0x8000, v5, v4
	v_and_b32_e32 v2, 0xffff, v2
	v_lshl_or_b32 v2, v3, 16, v2
	global_store_b32 v[0:1], v2, off
	global_load_b32 v4, v[30:31], off offset:14336
	ds_load_2addr_stride64_b32 v[2:3], v57 offset0:56 offset1:76
	s_wait_dscnt 0x0
	v_lshrrev_b32_e32 v5, 16, v2
	s_wait_loadcnt 0x0
	v_lshrrev_b32_e32 v6, 16, v4
	s_delay_alu instid0(VALU_DEP_1) | instskip(SKIP_1) | instid1(VALU_DEP_2)
	v_mul_f16_e32 v7, v5, v6
	v_mul_f16_e32 v6, v2, v6
	v_fmac_f16_e32 v7, v2, v4
	s_delay_alu instid0(VALU_DEP_2) | instskip(NEXT) | instid1(VALU_DEP_2)
	v_fma_f16 v2, v4, v5, -v6
	v_cvt_f32_f16_e32 v4, v7
	s_delay_alu instid0(VALU_DEP_2) | instskip(NEXT) | instid1(VALU_DEP_2)
	v_cvt_f32_f16_e32 v2, v2
	v_cvt_f64_f32_e32 v[4:5], v4
	s_delay_alu instid0(VALU_DEP_2) | instskip(NEXT) | instid1(VALU_DEP_2)
	v_cvt_f64_f32_e32 v[6:7], v2
	v_mul_f64_e32 v[4:5], s[10:11], v[4:5]
	s_delay_alu instid0(VALU_DEP_2) | instskip(NEXT) | instid1(VALU_DEP_2)
	v_mul_f64_e32 v[6:7], s[10:11], v[6:7]
	v_and_or_b32 v2, 0x1ff, v5, v4
	s_delay_alu instid0(VALU_DEP_2)
	v_and_or_b32 v6, 0x1ff, v7, v6
	v_lshrrev_b32_e32 v4, 8, v5
	v_bfe_u32 v8, v5, 20, 11
	v_lshrrev_b32_e32 v9, 8, v7
	v_cmp_ne_u32_e32 vcc_lo, 0, v2
	v_bfe_u32 v10, v7, 20, 11
	v_lshrrev_b32_e32 v5, 16, v5
	v_sub_nc_u32_e32 v11, 0x3f1, v8
	v_add_nc_u32_e32 v8, 0xfffffc10, v8
	s_wait_alu 0xfffd
	v_cndmask_b32_e64 v2, 0, 1, vcc_lo
	v_cmp_ne_u32_e32 vcc_lo, 0, v6
	v_lshrrev_b32_e32 v7, 16, v7
	s_delay_alu instid0(VALU_DEP_3) | instskip(SKIP_4) | instid1(VALU_DEP_3)
	v_and_or_b32 v2, 0xffe, v4, v2
	s_wait_alu 0xfffd
	v_cndmask_b32_e64 v6, 0, 1, vcc_lo
	v_sub_nc_u32_e32 v4, 0x3f1, v10
	v_add_nc_u32_e32 v10, 0xfffffc10, v10
	v_and_or_b32 v6, 0xffe, v9, v6
	v_med3_i32 v9, v11, 0, 13
	v_or_b32_e32 v11, 0x1000, v2
	v_med3_i32 v4, v4, 0, 13
	s_delay_alu instid0(VALU_DEP_4) | instskip(NEXT) | instid1(VALU_DEP_3)
	v_or_b32_e32 v12, 0x1000, v6
	v_lshrrev_b32_e32 v13, v9, v11
	s_delay_alu instid0(VALU_DEP_2) | instskip(NEXT) | instid1(VALU_DEP_2)
	v_lshrrev_b32_e32 v14, v4, v12
	v_lshlrev_b32_e32 v9, v9, v13
	s_delay_alu instid0(VALU_DEP_2) | instskip(NEXT) | instid1(VALU_DEP_2)
	v_lshlrev_b32_e32 v4, v4, v14
	v_cmp_ne_u32_e32 vcc_lo, v9, v11
	v_lshl_or_b32 v11, v8, 12, v2
	s_wait_alu 0xfffd
	v_cndmask_b32_e64 v9, 0, 1, vcc_lo
	v_cmp_ne_u32_e32 vcc_lo, v4, v12
	v_lshl_or_b32 v12, v10, 12, v6
	s_delay_alu instid0(VALU_DEP_3) | instskip(SKIP_3) | instid1(VALU_DEP_2)
	v_or_b32_e32 v9, v13, v9
	s_wait_alu 0xfffd
	v_cndmask_b32_e64 v4, 0, 1, vcc_lo
	v_cmp_gt_i32_e32 vcc_lo, 1, v8
	v_or_b32_e32 v4, v14, v4
	s_wait_alu 0xfffd
	v_cndmask_b32_e32 v9, v11, v9, vcc_lo
	v_cmp_gt_i32_e32 vcc_lo, 1, v10
	s_wait_alu 0xfffd
	s_delay_alu instid0(VALU_DEP_2) | instskip(SKIP_2) | instid1(VALU_DEP_3)
	v_dual_cndmask_b32 v4, v12, v4 :: v_dual_and_b32 v11, 7, v9
	v_cmp_ne_u32_e32 vcc_lo, 0, v2
	v_lshrrev_b32_e32 v9, 2, v9
	v_cmp_eq_u32_e64 s0, 3, v11
	s_delay_alu instid0(VALU_DEP_4)
	v_and_b32_e32 v12, 7, v4
	s_wait_alu 0xfffd
	v_cndmask_b32_e64 v2, 0, 1, vcc_lo
	v_cmp_ne_u32_e32 vcc_lo, 0, v6
	v_lshrrev_b32_e32 v4, 2, v4
	v_cmp_lt_i32_e64 s1, 5, v12
	v_cmp_eq_u32_e64 s2, 3, v12
	s_wait_alu 0xfffd
	v_cndmask_b32_e64 v6, 0, 1, vcc_lo
	v_cmp_lt_i32_e32 vcc_lo, 5, v11
	v_lshl_or_b32 v2, v2, 9, 0x7c00
	s_delay_alu instid0(VALU_DEP_3)
	v_lshl_or_b32 v6, v6, 9, 0x7c00
	s_or_b32 vcc_lo, s0, vcc_lo
	s_wait_alu 0xfffe
	v_add_co_ci_u32_e32 v9, vcc_lo, 0, v9, vcc_lo
	s_or_b32 vcc_lo, s2, s1
	s_wait_alu 0xfffe
	v_add_co_ci_u32_e32 v4, vcc_lo, 0, v4, vcc_lo
	v_cmp_gt_i32_e32 vcc_lo, 31, v8
	s_wait_alu 0xfffd
	v_cndmask_b32_e32 v9, 0x7c00, v9, vcc_lo
	v_cmp_gt_i32_e32 vcc_lo, 31, v10
	s_wait_alu 0xfffd
	v_cndmask_b32_e32 v4, 0x7c00, v4, vcc_lo
	v_cmp_eq_u32_e32 vcc_lo, 0x40f, v8
	s_wait_alu 0xfffd
	v_cndmask_b32_e32 v2, v9, v2, vcc_lo
	v_cmp_eq_u32_e32 vcc_lo, 0x40f, v10
	s_delay_alu instid0(VALU_DEP_2)
	v_and_or_b32 v2, 0x8000, v5, v2
	s_wait_alu 0xfffd
	v_cndmask_b32_e32 v4, v4, v6, vcc_lo
	v_add_co_u32 v0, vcc_lo, v0, s6
	s_wait_alu 0xfffd
	v_add_co_ci_u32_e32 v1, vcc_lo, s7, v1, vcc_lo
	s_delay_alu instid0(VALU_DEP_3) | instskip(SKIP_1) | instid1(VALU_DEP_1)
	v_and_or_b32 v4, 0x8000, v7, v4
	v_and_b32_e32 v2, 0xffff, v2
	v_lshl_or_b32 v2, v4, 16, v2
	v_lshrrev_b32_e32 v4, 16, v3
	global_store_b32 v[0:1], v2, off
	global_load_b32 v2, v[30:31], off offset:19456
	s_wait_loadcnt 0x0
	v_lshrrev_b32_e32 v5, 16, v2
	s_delay_alu instid0(VALU_DEP_1) | instskip(SKIP_1) | instid1(VALU_DEP_2)
	v_mul_f16_e32 v6, v4, v5
	v_mul_f16_e32 v5, v3, v5
	v_fmac_f16_e32 v6, v3, v2
	s_delay_alu instid0(VALU_DEP_2) | instskip(NEXT) | instid1(VALU_DEP_2)
	v_fma_f16 v2, v2, v4, -v5
	v_cvt_f32_f16_e32 v3, v6
	s_delay_alu instid0(VALU_DEP_2) | instskip(NEXT) | instid1(VALU_DEP_2)
	v_cvt_f32_f16_e32 v4, v2
	v_cvt_f64_f32_e32 v[2:3], v3
	s_delay_alu instid0(VALU_DEP_2) | instskip(NEXT) | instid1(VALU_DEP_2)
	v_cvt_f64_f32_e32 v[4:5], v4
	v_mul_f64_e32 v[2:3], s[10:11], v[2:3]
	s_delay_alu instid0(VALU_DEP_2) | instskip(NEXT) | instid1(VALU_DEP_2)
	v_mul_f64_e32 v[4:5], s[10:11], v[4:5]
	v_and_or_b32 v2, 0x1ff, v3, v2
	s_delay_alu instid0(VALU_DEP_2)
	v_and_or_b32 v4, 0x1ff, v5, v4
	v_lshrrev_b32_e32 v6, 8, v3
	v_bfe_u32 v7, v3, 20, 11
	v_lshrrev_b32_e32 v8, 8, v5
	v_cmp_ne_u32_e32 vcc_lo, 0, v2
	v_bfe_u32 v9, v5, 20, 11
	v_lshrrev_b32_e32 v3, 16, v3
	v_sub_nc_u32_e32 v10, 0x3f1, v7
	v_add_nc_u32_e32 v7, 0xfffffc10, v7
	s_wait_alu 0xfffd
	v_cndmask_b32_e64 v2, 0, 1, vcc_lo
	v_cmp_ne_u32_e32 vcc_lo, 0, v4
	v_lshrrev_b32_e32 v5, 16, v5
	s_delay_alu instid0(VALU_DEP_3) | instskip(SKIP_4) | instid1(VALU_DEP_3)
	v_and_or_b32 v2, 0xffe, v6, v2
	s_wait_alu 0xfffd
	v_cndmask_b32_e64 v4, 0, 1, vcc_lo
	v_sub_nc_u32_e32 v6, 0x3f1, v9
	v_add_nc_u32_e32 v9, 0xfffffc10, v9
	v_and_or_b32 v4, 0xffe, v8, v4
	v_med3_i32 v8, v10, 0, 13
	v_or_b32_e32 v10, 0x1000, v2
	v_med3_i32 v6, v6, 0, 13
	s_delay_alu instid0(VALU_DEP_4) | instskip(NEXT) | instid1(VALU_DEP_3)
	v_or_b32_e32 v11, 0x1000, v4
	v_lshrrev_b32_e32 v12, v8, v10
	s_delay_alu instid0(VALU_DEP_2) | instskip(NEXT) | instid1(VALU_DEP_2)
	v_lshrrev_b32_e32 v13, v6, v11
	v_lshlrev_b32_e32 v8, v8, v12
	s_delay_alu instid0(VALU_DEP_2) | instskip(NEXT) | instid1(VALU_DEP_2)
	v_lshlrev_b32_e32 v6, v6, v13
	v_cmp_ne_u32_e32 vcc_lo, v8, v10
	v_lshl_or_b32 v10, v7, 12, v2
	s_wait_alu 0xfffd
	v_cndmask_b32_e64 v8, 0, 1, vcc_lo
	v_cmp_ne_u32_e32 vcc_lo, v6, v11
	v_lshl_or_b32 v11, v9, 12, v4
	s_delay_alu instid0(VALU_DEP_3) | instskip(SKIP_3) | instid1(VALU_DEP_2)
	v_or_b32_e32 v8, v12, v8
	s_wait_alu 0xfffd
	v_cndmask_b32_e64 v6, 0, 1, vcc_lo
	v_cmp_gt_i32_e32 vcc_lo, 1, v7
	v_or_b32_e32 v6, v13, v6
	s_wait_alu 0xfffd
	v_cndmask_b32_e32 v8, v10, v8, vcc_lo
	v_cmp_gt_i32_e32 vcc_lo, 1, v9
	s_delay_alu instid0(VALU_DEP_2)
	v_and_b32_e32 v10, 7, v8
	s_wait_alu 0xfffd
	v_cndmask_b32_e32 v6, v11, v6, vcc_lo
	v_cmp_ne_u32_e32 vcc_lo, 0, v2
	v_lshrrev_b32_e32 v8, 2, v8
	v_cmp_eq_u32_e64 s0, 3, v10
	s_delay_alu instid0(VALU_DEP_4)
	v_and_b32_e32 v11, 7, v6
	s_wait_alu 0xfffd
	v_cndmask_b32_e64 v2, 0, 1, vcc_lo
	v_cmp_ne_u32_e32 vcc_lo, 0, v4
	v_lshrrev_b32_e32 v6, 2, v6
	v_cmp_lt_i32_e64 s1, 5, v11
	v_cmp_eq_u32_e64 s2, 3, v11
	s_wait_alu 0xfffd
	v_cndmask_b32_e64 v4, 0, 1, vcc_lo
	v_cmp_lt_i32_e32 vcc_lo, 5, v10
	v_lshl_or_b32 v2, v2, 9, 0x7c00
	s_delay_alu instid0(VALU_DEP_3)
	v_lshl_or_b32 v4, v4, 9, 0x7c00
	s_or_b32 vcc_lo, s0, vcc_lo
	s_wait_alu 0xfffe
	v_add_co_ci_u32_e32 v8, vcc_lo, 0, v8, vcc_lo
	s_or_b32 vcc_lo, s2, s1
	s_wait_alu 0xfffe
	v_add_co_ci_u32_e32 v6, vcc_lo, 0, v6, vcc_lo
	v_cmp_gt_i32_e32 vcc_lo, 31, v7
	s_wait_alu 0xfffd
	v_cndmask_b32_e32 v8, 0x7c00, v8, vcc_lo
	v_cmp_gt_i32_e32 vcc_lo, 31, v9
	s_wait_alu 0xfffd
	v_cndmask_b32_e32 v6, 0x7c00, v6, vcc_lo
	v_cmp_eq_u32_e32 vcc_lo, 0x40f, v7
	s_wait_alu 0xfffd
	v_cndmask_b32_e32 v2, v8, v2, vcc_lo
	v_cmp_eq_u32_e32 vcc_lo, 0x40f, v9
	s_delay_alu instid0(VALU_DEP_2)
	v_and_or_b32 v2, 0x8000, v3, v2
	s_wait_alu 0xfffd
	v_cndmask_b32_e32 v4, v6, v4, vcc_lo
	v_add_co_u32 v0, vcc_lo, v0, s6
	s_wait_alu 0xfffd
	v_add_co_ci_u32_e32 v1, vcc_lo, s7, v1, vcc_lo
	s_delay_alu instid0(VALU_DEP_3) | instskip(SKIP_1) | instid1(VALU_DEP_1)
	v_and_or_b32 v3, 0x8000, v5, v4
	v_and_b32_e32 v2, 0xffff, v2
	v_lshl_or_b32 v2, v3, 16, v2
	global_store_b32 v[0:1], v2, off
	global_load_b32 v4, v[30:31], off offset:24576
	ds_load_2addr_stride64_b32 v[2:3], v57 offset0:96 offset1:116
	s_wait_dscnt 0x0
	v_lshrrev_b32_e32 v5, 16, v2
	s_wait_loadcnt 0x0
	v_lshrrev_b32_e32 v6, 16, v4
	s_delay_alu instid0(VALU_DEP_1) | instskip(SKIP_1) | instid1(VALU_DEP_2)
	v_mul_f16_e32 v7, v5, v6
	v_mul_f16_e32 v6, v2, v6
	v_fmac_f16_e32 v7, v2, v4
	s_delay_alu instid0(VALU_DEP_2) | instskip(NEXT) | instid1(VALU_DEP_2)
	v_fma_f16 v2, v4, v5, -v6
	v_cvt_f32_f16_e32 v4, v7
	s_delay_alu instid0(VALU_DEP_2) | instskip(NEXT) | instid1(VALU_DEP_2)
	v_cvt_f32_f16_e32 v2, v2
	v_cvt_f64_f32_e32 v[4:5], v4
	s_delay_alu instid0(VALU_DEP_2) | instskip(NEXT) | instid1(VALU_DEP_2)
	v_cvt_f64_f32_e32 v[6:7], v2
	v_mul_f64_e32 v[4:5], s[10:11], v[4:5]
	s_delay_alu instid0(VALU_DEP_2) | instskip(NEXT) | instid1(VALU_DEP_2)
	v_mul_f64_e32 v[6:7], s[10:11], v[6:7]
	v_and_or_b32 v2, 0x1ff, v5, v4
	s_delay_alu instid0(VALU_DEP_2)
	v_and_or_b32 v6, 0x1ff, v7, v6
	v_lshrrev_b32_e32 v4, 8, v5
	v_bfe_u32 v8, v5, 20, 11
	v_lshrrev_b32_e32 v9, 8, v7
	v_cmp_ne_u32_e32 vcc_lo, 0, v2
	v_bfe_u32 v10, v7, 20, 11
	v_lshrrev_b32_e32 v5, 16, v5
	v_sub_nc_u32_e32 v11, 0x3f1, v8
	v_add_nc_u32_e32 v8, 0xfffffc10, v8
	s_wait_alu 0xfffd
	v_cndmask_b32_e64 v2, 0, 1, vcc_lo
	v_cmp_ne_u32_e32 vcc_lo, 0, v6
	v_lshrrev_b32_e32 v7, 16, v7
	s_delay_alu instid0(VALU_DEP_3) | instskip(SKIP_4) | instid1(VALU_DEP_3)
	v_and_or_b32 v2, 0xffe, v4, v2
	s_wait_alu 0xfffd
	v_cndmask_b32_e64 v6, 0, 1, vcc_lo
	v_sub_nc_u32_e32 v4, 0x3f1, v10
	v_add_nc_u32_e32 v10, 0xfffffc10, v10
	v_and_or_b32 v6, 0xffe, v9, v6
	v_med3_i32 v9, v11, 0, 13
	v_or_b32_e32 v11, 0x1000, v2
	v_med3_i32 v4, v4, 0, 13
	s_delay_alu instid0(VALU_DEP_4) | instskip(NEXT) | instid1(VALU_DEP_3)
	v_or_b32_e32 v12, 0x1000, v6
	v_lshrrev_b32_e32 v13, v9, v11
	s_delay_alu instid0(VALU_DEP_2) | instskip(NEXT) | instid1(VALU_DEP_2)
	v_lshrrev_b32_e32 v14, v4, v12
	v_lshlrev_b32_e32 v9, v9, v13
	s_delay_alu instid0(VALU_DEP_2) | instskip(NEXT) | instid1(VALU_DEP_2)
	v_lshlrev_b32_e32 v4, v4, v14
	v_cmp_ne_u32_e32 vcc_lo, v9, v11
	v_lshl_or_b32 v11, v8, 12, v2
	s_wait_alu 0xfffd
	v_cndmask_b32_e64 v9, 0, 1, vcc_lo
	v_cmp_ne_u32_e32 vcc_lo, v4, v12
	v_lshl_or_b32 v12, v10, 12, v6
	s_delay_alu instid0(VALU_DEP_3) | instskip(SKIP_3) | instid1(VALU_DEP_2)
	v_or_b32_e32 v9, v13, v9
	s_wait_alu 0xfffd
	v_cndmask_b32_e64 v4, 0, 1, vcc_lo
	v_cmp_gt_i32_e32 vcc_lo, 1, v8
	v_or_b32_e32 v4, v14, v4
	s_wait_alu 0xfffd
	v_cndmask_b32_e32 v9, v11, v9, vcc_lo
	v_cmp_gt_i32_e32 vcc_lo, 1, v10
	s_wait_alu 0xfffd
	s_delay_alu instid0(VALU_DEP_2) | instskip(SKIP_2) | instid1(VALU_DEP_3)
	v_dual_cndmask_b32 v4, v12, v4 :: v_dual_and_b32 v11, 7, v9
	v_cmp_ne_u32_e32 vcc_lo, 0, v2
	v_lshrrev_b32_e32 v9, 2, v9
	v_cmp_eq_u32_e64 s0, 3, v11
	s_delay_alu instid0(VALU_DEP_4)
	v_and_b32_e32 v12, 7, v4
	s_wait_alu 0xfffd
	v_cndmask_b32_e64 v2, 0, 1, vcc_lo
	v_cmp_ne_u32_e32 vcc_lo, 0, v6
	v_lshrrev_b32_e32 v4, 2, v4
	v_cmp_lt_i32_e64 s1, 5, v12
	v_cmp_eq_u32_e64 s2, 3, v12
	s_wait_alu 0xfffd
	v_cndmask_b32_e64 v6, 0, 1, vcc_lo
	v_cmp_lt_i32_e32 vcc_lo, 5, v11
	v_lshl_or_b32 v2, v2, 9, 0x7c00
	s_delay_alu instid0(VALU_DEP_3)
	v_lshl_or_b32 v6, v6, 9, 0x7c00
	s_or_b32 vcc_lo, s0, vcc_lo
	s_wait_alu 0xfffe
	v_add_co_ci_u32_e32 v9, vcc_lo, 0, v9, vcc_lo
	s_or_b32 vcc_lo, s2, s1
	s_wait_alu 0xfffe
	v_add_co_ci_u32_e32 v4, vcc_lo, 0, v4, vcc_lo
	v_cmp_gt_i32_e32 vcc_lo, 31, v8
	s_wait_alu 0xfffd
	v_cndmask_b32_e32 v9, 0x7c00, v9, vcc_lo
	v_cmp_gt_i32_e32 vcc_lo, 31, v10
	s_wait_alu 0xfffd
	v_cndmask_b32_e32 v4, 0x7c00, v4, vcc_lo
	v_cmp_eq_u32_e32 vcc_lo, 0x40f, v8
	s_wait_alu 0xfffd
	v_cndmask_b32_e32 v2, v9, v2, vcc_lo
	v_cmp_eq_u32_e32 vcc_lo, 0x40f, v10
	s_delay_alu instid0(VALU_DEP_2)
	v_and_or_b32 v2, 0x8000, v5, v2
	s_wait_alu 0xfffd
	v_cndmask_b32_e32 v4, v4, v6, vcc_lo
	v_add_co_u32 v0, vcc_lo, v0, s6
	s_wait_alu 0xfffd
	v_add_co_ci_u32_e32 v1, vcc_lo, s7, v1, vcc_lo
	s_delay_alu instid0(VALU_DEP_3) | instskip(SKIP_1) | instid1(VALU_DEP_1)
	v_and_or_b32 v4, 0x8000, v7, v4
	v_and_b32_e32 v2, 0xffff, v2
	v_lshl_or_b32 v2, v4, 16, v2
	v_lshrrev_b32_e32 v4, 16, v3
	global_store_b32 v[0:1], v2, off
	global_load_b32 v2, v[30:31], off offset:29696
	s_wait_loadcnt 0x0
	v_lshrrev_b32_e32 v5, 16, v2
	s_delay_alu instid0(VALU_DEP_1) | instskip(SKIP_1) | instid1(VALU_DEP_2)
	v_mul_f16_e32 v6, v4, v5
	v_mul_f16_e32 v5, v3, v5
	v_fmac_f16_e32 v6, v3, v2
	s_delay_alu instid0(VALU_DEP_2) | instskip(NEXT) | instid1(VALU_DEP_2)
	v_fma_f16 v2, v2, v4, -v5
	v_cvt_f32_f16_e32 v3, v6
	s_delay_alu instid0(VALU_DEP_2) | instskip(NEXT) | instid1(VALU_DEP_2)
	v_cvt_f32_f16_e32 v4, v2
	v_cvt_f64_f32_e32 v[2:3], v3
	s_delay_alu instid0(VALU_DEP_2) | instskip(NEXT) | instid1(VALU_DEP_2)
	v_cvt_f64_f32_e32 v[4:5], v4
	v_mul_f64_e32 v[2:3], s[10:11], v[2:3]
	s_delay_alu instid0(VALU_DEP_2) | instskip(NEXT) | instid1(VALU_DEP_2)
	v_mul_f64_e32 v[4:5], s[10:11], v[4:5]
	v_and_or_b32 v2, 0x1ff, v3, v2
	s_delay_alu instid0(VALU_DEP_2)
	v_and_or_b32 v4, 0x1ff, v5, v4
	v_lshrrev_b32_e32 v6, 8, v3
	v_bfe_u32 v7, v3, 20, 11
	v_lshrrev_b32_e32 v8, 8, v5
	v_cmp_ne_u32_e32 vcc_lo, 0, v2
	v_bfe_u32 v9, v5, 20, 11
	v_lshrrev_b32_e32 v3, 16, v3
	v_sub_nc_u32_e32 v10, 0x3f1, v7
	v_add_nc_u32_e32 v7, 0xfffffc10, v7
	s_wait_alu 0xfffd
	v_cndmask_b32_e64 v2, 0, 1, vcc_lo
	v_cmp_ne_u32_e32 vcc_lo, 0, v4
	v_lshrrev_b32_e32 v5, 16, v5
	s_delay_alu instid0(VALU_DEP_3) | instskip(SKIP_4) | instid1(VALU_DEP_3)
	v_and_or_b32 v2, 0xffe, v6, v2
	s_wait_alu 0xfffd
	v_cndmask_b32_e64 v4, 0, 1, vcc_lo
	v_sub_nc_u32_e32 v6, 0x3f1, v9
	v_add_nc_u32_e32 v9, 0xfffffc10, v9
	v_and_or_b32 v4, 0xffe, v8, v4
	v_med3_i32 v8, v10, 0, 13
	v_or_b32_e32 v10, 0x1000, v2
	v_med3_i32 v6, v6, 0, 13
	s_delay_alu instid0(VALU_DEP_4) | instskip(NEXT) | instid1(VALU_DEP_3)
	v_or_b32_e32 v11, 0x1000, v4
	v_lshrrev_b32_e32 v12, v8, v10
	s_delay_alu instid0(VALU_DEP_2) | instskip(NEXT) | instid1(VALU_DEP_2)
	v_lshrrev_b32_e32 v13, v6, v11
	v_lshlrev_b32_e32 v8, v8, v12
	s_delay_alu instid0(VALU_DEP_2) | instskip(NEXT) | instid1(VALU_DEP_2)
	v_lshlrev_b32_e32 v6, v6, v13
	v_cmp_ne_u32_e32 vcc_lo, v8, v10
	v_lshl_or_b32 v10, v7, 12, v2
	s_wait_alu 0xfffd
	v_cndmask_b32_e64 v8, 0, 1, vcc_lo
	v_cmp_ne_u32_e32 vcc_lo, v6, v11
	v_lshl_or_b32 v11, v9, 12, v4
	s_delay_alu instid0(VALU_DEP_3) | instskip(SKIP_3) | instid1(VALU_DEP_2)
	v_or_b32_e32 v8, v12, v8
	s_wait_alu 0xfffd
	v_cndmask_b32_e64 v6, 0, 1, vcc_lo
	v_cmp_gt_i32_e32 vcc_lo, 1, v7
	v_or_b32_e32 v6, v13, v6
	s_wait_alu 0xfffd
	v_cndmask_b32_e32 v8, v10, v8, vcc_lo
	v_cmp_gt_i32_e32 vcc_lo, 1, v9
	s_delay_alu instid0(VALU_DEP_2)
	v_and_b32_e32 v10, 7, v8
	s_wait_alu 0xfffd
	v_cndmask_b32_e32 v6, v11, v6, vcc_lo
	v_cmp_ne_u32_e32 vcc_lo, 0, v2
	v_lshrrev_b32_e32 v8, 2, v8
	v_cmp_eq_u32_e64 s0, 3, v10
	s_delay_alu instid0(VALU_DEP_4)
	v_and_b32_e32 v11, 7, v6
	s_wait_alu 0xfffd
	v_cndmask_b32_e64 v2, 0, 1, vcc_lo
	v_cmp_ne_u32_e32 vcc_lo, 0, v4
	v_lshrrev_b32_e32 v6, 2, v6
	v_cmp_lt_i32_e64 s1, 5, v11
	v_cmp_eq_u32_e64 s2, 3, v11
	s_wait_alu 0xfffd
	v_cndmask_b32_e64 v4, 0, 1, vcc_lo
	v_cmp_lt_i32_e32 vcc_lo, 5, v10
	v_lshl_or_b32 v2, v2, 9, 0x7c00
	s_delay_alu instid0(VALU_DEP_3)
	v_lshl_or_b32 v4, v4, 9, 0x7c00
	s_or_b32 vcc_lo, s0, vcc_lo
	s_wait_alu 0xfffe
	v_add_co_ci_u32_e32 v8, vcc_lo, 0, v8, vcc_lo
	s_or_b32 vcc_lo, s2, s1
	s_wait_alu 0xfffe
	v_add_co_ci_u32_e32 v6, vcc_lo, 0, v6, vcc_lo
	v_cmp_gt_i32_e32 vcc_lo, 31, v7
	s_wait_alu 0xfffd
	v_cndmask_b32_e32 v8, 0x7c00, v8, vcc_lo
	v_cmp_gt_i32_e32 vcc_lo, 31, v9
	s_wait_alu 0xfffd
	v_cndmask_b32_e32 v6, 0x7c00, v6, vcc_lo
	v_cmp_eq_u32_e32 vcc_lo, 0x40f, v7
	s_wait_alu 0xfffd
	v_cndmask_b32_e32 v2, v8, v2, vcc_lo
	v_cmp_eq_u32_e32 vcc_lo, 0x40f, v9
	s_delay_alu instid0(VALU_DEP_2)
	v_and_or_b32 v2, 0x8000, v3, v2
	s_wait_alu 0xfffd
	v_cndmask_b32_e32 v4, v6, v4, vcc_lo
	v_add_co_u32 v0, vcc_lo, v0, s6
	s_wait_alu 0xfffd
	v_add_co_ci_u32_e32 v1, vcc_lo, s7, v1, vcc_lo
	s_delay_alu instid0(VALU_DEP_3) | instskip(SKIP_1) | instid1(VALU_DEP_1)
	v_and_or_b32 v3, 0x8000, v5, v4
	v_and_b32_e32 v2, 0xffff, v2
	v_lshl_or_b32 v2, v3, 16, v2
	global_store_b32 v[0:1], v2, off
	global_load_b32 v4, v[30:31], off offset:34816
	ds_load_2addr_stride64_b32 v[2:3], v57 offset0:136 offset1:156
	s_wait_dscnt 0x0
	v_lshrrev_b32_e32 v5, 16, v2
	s_wait_loadcnt 0x0
	v_lshrrev_b32_e32 v6, 16, v4
	s_delay_alu instid0(VALU_DEP_1) | instskip(SKIP_1) | instid1(VALU_DEP_2)
	v_mul_f16_e32 v7, v5, v6
	v_mul_f16_e32 v6, v2, v6
	v_fmac_f16_e32 v7, v2, v4
	s_delay_alu instid0(VALU_DEP_2) | instskip(NEXT) | instid1(VALU_DEP_2)
	v_fma_f16 v2, v4, v5, -v6
	v_cvt_f32_f16_e32 v4, v7
	s_delay_alu instid0(VALU_DEP_2) | instskip(NEXT) | instid1(VALU_DEP_2)
	v_cvt_f32_f16_e32 v2, v2
	v_cvt_f64_f32_e32 v[4:5], v4
	s_delay_alu instid0(VALU_DEP_2) | instskip(NEXT) | instid1(VALU_DEP_2)
	v_cvt_f64_f32_e32 v[6:7], v2
	v_mul_f64_e32 v[4:5], s[10:11], v[4:5]
	s_delay_alu instid0(VALU_DEP_2) | instskip(NEXT) | instid1(VALU_DEP_2)
	v_mul_f64_e32 v[6:7], s[10:11], v[6:7]
	v_and_or_b32 v2, 0x1ff, v5, v4
	s_delay_alu instid0(VALU_DEP_2)
	v_and_or_b32 v6, 0x1ff, v7, v6
	v_lshrrev_b32_e32 v4, 8, v5
	v_bfe_u32 v8, v5, 20, 11
	v_lshrrev_b32_e32 v9, 8, v7
	v_cmp_ne_u32_e32 vcc_lo, 0, v2
	v_bfe_u32 v10, v7, 20, 11
	v_lshrrev_b32_e32 v5, 16, v5
	v_sub_nc_u32_e32 v11, 0x3f1, v8
	v_add_nc_u32_e32 v8, 0xfffffc10, v8
	s_wait_alu 0xfffd
	v_cndmask_b32_e64 v2, 0, 1, vcc_lo
	v_cmp_ne_u32_e32 vcc_lo, 0, v6
	v_lshrrev_b32_e32 v7, 16, v7
	s_delay_alu instid0(VALU_DEP_3) | instskip(SKIP_4) | instid1(VALU_DEP_3)
	v_and_or_b32 v2, 0xffe, v4, v2
	s_wait_alu 0xfffd
	v_cndmask_b32_e64 v6, 0, 1, vcc_lo
	v_sub_nc_u32_e32 v4, 0x3f1, v10
	v_add_nc_u32_e32 v10, 0xfffffc10, v10
	v_and_or_b32 v6, 0xffe, v9, v6
	v_med3_i32 v9, v11, 0, 13
	v_or_b32_e32 v11, 0x1000, v2
	v_med3_i32 v4, v4, 0, 13
	s_delay_alu instid0(VALU_DEP_4) | instskip(NEXT) | instid1(VALU_DEP_3)
	v_or_b32_e32 v12, 0x1000, v6
	v_lshrrev_b32_e32 v13, v9, v11
	s_delay_alu instid0(VALU_DEP_2) | instskip(NEXT) | instid1(VALU_DEP_2)
	v_lshrrev_b32_e32 v14, v4, v12
	v_lshlrev_b32_e32 v9, v9, v13
	s_delay_alu instid0(VALU_DEP_2) | instskip(NEXT) | instid1(VALU_DEP_2)
	v_lshlrev_b32_e32 v4, v4, v14
	v_cmp_ne_u32_e32 vcc_lo, v9, v11
	v_lshl_or_b32 v11, v8, 12, v2
	s_wait_alu 0xfffd
	v_cndmask_b32_e64 v9, 0, 1, vcc_lo
	v_cmp_ne_u32_e32 vcc_lo, v4, v12
	v_lshl_or_b32 v12, v10, 12, v6
	s_delay_alu instid0(VALU_DEP_3) | instskip(SKIP_3) | instid1(VALU_DEP_2)
	v_or_b32_e32 v9, v13, v9
	s_wait_alu 0xfffd
	v_cndmask_b32_e64 v4, 0, 1, vcc_lo
	v_cmp_gt_i32_e32 vcc_lo, 1, v8
	v_or_b32_e32 v4, v14, v4
	s_wait_alu 0xfffd
	v_cndmask_b32_e32 v9, v11, v9, vcc_lo
	v_cmp_gt_i32_e32 vcc_lo, 1, v10
	s_wait_alu 0xfffd
	s_delay_alu instid0(VALU_DEP_2) | instskip(SKIP_2) | instid1(VALU_DEP_3)
	v_dual_cndmask_b32 v4, v12, v4 :: v_dual_and_b32 v11, 7, v9
	v_cmp_ne_u32_e32 vcc_lo, 0, v2
	v_lshrrev_b32_e32 v9, 2, v9
	v_cmp_eq_u32_e64 s0, 3, v11
	s_delay_alu instid0(VALU_DEP_4)
	v_and_b32_e32 v12, 7, v4
	s_wait_alu 0xfffd
	v_cndmask_b32_e64 v2, 0, 1, vcc_lo
	v_cmp_ne_u32_e32 vcc_lo, 0, v6
	v_lshrrev_b32_e32 v4, 2, v4
	v_cmp_lt_i32_e64 s1, 5, v12
	v_cmp_eq_u32_e64 s2, 3, v12
	s_wait_alu 0xfffd
	v_cndmask_b32_e64 v6, 0, 1, vcc_lo
	v_cmp_lt_i32_e32 vcc_lo, 5, v11
	v_lshl_or_b32 v2, v2, 9, 0x7c00
	s_delay_alu instid0(VALU_DEP_3)
	v_lshl_or_b32 v6, v6, 9, 0x7c00
	s_or_b32 vcc_lo, s0, vcc_lo
	s_wait_alu 0xfffe
	v_add_co_ci_u32_e32 v9, vcc_lo, 0, v9, vcc_lo
	s_or_b32 vcc_lo, s2, s1
	s_wait_alu 0xfffe
	v_add_co_ci_u32_e32 v4, vcc_lo, 0, v4, vcc_lo
	v_cmp_gt_i32_e32 vcc_lo, 31, v8
	s_wait_alu 0xfffd
	v_cndmask_b32_e32 v9, 0x7c00, v9, vcc_lo
	v_cmp_gt_i32_e32 vcc_lo, 31, v10
	s_wait_alu 0xfffd
	v_cndmask_b32_e32 v4, 0x7c00, v4, vcc_lo
	v_cmp_eq_u32_e32 vcc_lo, 0x40f, v8
	s_wait_alu 0xfffd
	v_cndmask_b32_e32 v2, v9, v2, vcc_lo
	v_cmp_eq_u32_e32 vcc_lo, 0x40f, v10
	s_delay_alu instid0(VALU_DEP_2)
	v_and_or_b32 v2, 0x8000, v5, v2
	s_wait_alu 0xfffd
	v_cndmask_b32_e32 v4, v4, v6, vcc_lo
	v_add_co_u32 v0, vcc_lo, v0, s6
	s_wait_alu 0xfffd
	v_add_co_ci_u32_e32 v1, vcc_lo, s7, v1, vcc_lo
	s_delay_alu instid0(VALU_DEP_3) | instskip(SKIP_1) | instid1(VALU_DEP_1)
	v_and_or_b32 v4, 0x8000, v7, v4
	v_and_b32_e32 v2, 0xffff, v2
	v_lshl_or_b32 v2, v4, 16, v2
	v_lshrrev_b32_e32 v4, 16, v3
	global_store_b32 v[0:1], v2, off
	global_load_b32 v2, v[30:31], off offset:39936
	s_wait_loadcnt 0x0
	v_lshrrev_b32_e32 v5, 16, v2
	s_delay_alu instid0(VALU_DEP_1) | instskip(SKIP_1) | instid1(VALU_DEP_2)
	v_mul_f16_e32 v6, v4, v5
	v_mul_f16_e32 v5, v3, v5
	v_fmac_f16_e32 v6, v3, v2
	s_delay_alu instid0(VALU_DEP_2) | instskip(NEXT) | instid1(VALU_DEP_2)
	v_fma_f16 v2, v2, v4, -v5
	v_cvt_f32_f16_e32 v3, v6
	s_delay_alu instid0(VALU_DEP_2) | instskip(NEXT) | instid1(VALU_DEP_2)
	v_cvt_f32_f16_e32 v4, v2
	v_cvt_f64_f32_e32 v[2:3], v3
	s_delay_alu instid0(VALU_DEP_2) | instskip(NEXT) | instid1(VALU_DEP_2)
	v_cvt_f64_f32_e32 v[4:5], v4
	v_mul_f64_e32 v[2:3], s[10:11], v[2:3]
	s_delay_alu instid0(VALU_DEP_2) | instskip(NEXT) | instid1(VALU_DEP_2)
	v_mul_f64_e32 v[4:5], s[10:11], v[4:5]
	v_and_or_b32 v2, 0x1ff, v3, v2
	s_delay_alu instid0(VALU_DEP_2)
	v_and_or_b32 v4, 0x1ff, v5, v4
	v_lshrrev_b32_e32 v6, 8, v3
	v_bfe_u32 v7, v3, 20, 11
	v_lshrrev_b32_e32 v8, 8, v5
	v_cmp_ne_u32_e32 vcc_lo, 0, v2
	v_bfe_u32 v9, v5, 20, 11
	v_lshrrev_b32_e32 v3, 16, v3
	v_sub_nc_u32_e32 v10, 0x3f1, v7
	v_add_nc_u32_e32 v7, 0xfffffc10, v7
	s_wait_alu 0xfffd
	v_cndmask_b32_e64 v2, 0, 1, vcc_lo
	v_cmp_ne_u32_e32 vcc_lo, 0, v4
	v_lshrrev_b32_e32 v5, 16, v5
	s_delay_alu instid0(VALU_DEP_3) | instskip(SKIP_4) | instid1(VALU_DEP_3)
	v_and_or_b32 v2, 0xffe, v6, v2
	s_wait_alu 0xfffd
	v_cndmask_b32_e64 v4, 0, 1, vcc_lo
	v_sub_nc_u32_e32 v6, 0x3f1, v9
	v_add_nc_u32_e32 v9, 0xfffffc10, v9
	v_and_or_b32 v4, 0xffe, v8, v4
	v_med3_i32 v8, v10, 0, 13
	v_or_b32_e32 v10, 0x1000, v2
	v_med3_i32 v6, v6, 0, 13
	s_delay_alu instid0(VALU_DEP_4) | instskip(NEXT) | instid1(VALU_DEP_3)
	v_or_b32_e32 v11, 0x1000, v4
	v_lshrrev_b32_e32 v12, v8, v10
	s_delay_alu instid0(VALU_DEP_2) | instskip(NEXT) | instid1(VALU_DEP_2)
	v_lshrrev_b32_e32 v13, v6, v11
	v_lshlrev_b32_e32 v8, v8, v12
	s_delay_alu instid0(VALU_DEP_2) | instskip(NEXT) | instid1(VALU_DEP_2)
	v_lshlrev_b32_e32 v6, v6, v13
	v_cmp_ne_u32_e32 vcc_lo, v8, v10
	v_lshl_or_b32 v10, v7, 12, v2
	s_wait_alu 0xfffd
	v_cndmask_b32_e64 v8, 0, 1, vcc_lo
	v_cmp_ne_u32_e32 vcc_lo, v6, v11
	v_lshl_or_b32 v11, v9, 12, v4
	s_delay_alu instid0(VALU_DEP_3) | instskip(SKIP_3) | instid1(VALU_DEP_2)
	v_or_b32_e32 v8, v12, v8
	s_wait_alu 0xfffd
	v_cndmask_b32_e64 v6, 0, 1, vcc_lo
	v_cmp_gt_i32_e32 vcc_lo, 1, v7
	v_or_b32_e32 v6, v13, v6
	s_wait_alu 0xfffd
	v_cndmask_b32_e32 v8, v10, v8, vcc_lo
	v_cmp_gt_i32_e32 vcc_lo, 1, v9
	s_delay_alu instid0(VALU_DEP_2)
	v_and_b32_e32 v10, 7, v8
	s_wait_alu 0xfffd
	v_cndmask_b32_e32 v6, v11, v6, vcc_lo
	v_cmp_ne_u32_e32 vcc_lo, 0, v2
	v_lshrrev_b32_e32 v8, 2, v8
	v_cmp_eq_u32_e64 s0, 3, v10
	s_delay_alu instid0(VALU_DEP_4)
	v_and_b32_e32 v11, 7, v6
	s_wait_alu 0xfffd
	v_cndmask_b32_e64 v2, 0, 1, vcc_lo
	v_cmp_ne_u32_e32 vcc_lo, 0, v4
	v_lshrrev_b32_e32 v6, 2, v6
	v_cmp_lt_i32_e64 s1, 5, v11
	v_cmp_eq_u32_e64 s2, 3, v11
	s_wait_alu 0xfffd
	v_cndmask_b32_e64 v4, 0, 1, vcc_lo
	v_cmp_lt_i32_e32 vcc_lo, 5, v10
	v_lshl_or_b32 v2, v2, 9, 0x7c00
	s_delay_alu instid0(VALU_DEP_3)
	v_lshl_or_b32 v4, v4, 9, 0x7c00
	s_or_b32 vcc_lo, s0, vcc_lo
	s_wait_alu 0xfffe
	v_add_co_ci_u32_e32 v8, vcc_lo, 0, v8, vcc_lo
	s_or_b32 vcc_lo, s2, s1
	s_wait_alu 0xfffe
	v_add_co_ci_u32_e32 v6, vcc_lo, 0, v6, vcc_lo
	v_cmp_gt_i32_e32 vcc_lo, 31, v7
	s_wait_alu 0xfffd
	v_cndmask_b32_e32 v8, 0x7c00, v8, vcc_lo
	v_cmp_gt_i32_e32 vcc_lo, 31, v9
	s_wait_alu 0xfffd
	v_cndmask_b32_e32 v6, 0x7c00, v6, vcc_lo
	v_cmp_eq_u32_e32 vcc_lo, 0x40f, v7
	s_wait_alu 0xfffd
	v_cndmask_b32_e32 v2, v8, v2, vcc_lo
	v_cmp_eq_u32_e32 vcc_lo, 0x40f, v9
	s_delay_alu instid0(VALU_DEP_2)
	v_and_or_b32 v2, 0x8000, v3, v2
	s_wait_alu 0xfffd
	v_cndmask_b32_e32 v4, v6, v4, vcc_lo
	v_add_co_u32 v0, vcc_lo, v0, s6
	s_wait_alu 0xfffd
	v_add_co_ci_u32_e32 v1, vcc_lo, s7, v1, vcc_lo
	s_delay_alu instid0(VALU_DEP_3) | instskip(SKIP_1) | instid1(VALU_DEP_1)
	v_and_or_b32 v3, 0x8000, v5, v4
	v_and_b32_e32 v2, 0xffff, v2
	v_lshl_or_b32 v2, v3, 16, v2
	global_store_b32 v[0:1], v2, off
.LBB0_15:
	s_nop 0
	s_sendmsg sendmsg(MSG_DEALLOC_VGPRS)
	s_endpgm
	.section	.rodata,"a",@progbits
	.p2align	6, 0x0
	.amdhsa_kernel bluestein_single_back_len10240_dim1_half_op_CI_CI
		.amdhsa_group_segment_fixed_size 40960
		.amdhsa_private_segment_fixed_size 0
		.amdhsa_kernarg_size 104
		.amdhsa_user_sgpr_count 2
		.amdhsa_user_sgpr_dispatch_ptr 0
		.amdhsa_user_sgpr_queue_ptr 0
		.amdhsa_user_sgpr_kernarg_segment_ptr 1
		.amdhsa_user_sgpr_dispatch_id 0
		.amdhsa_user_sgpr_private_segment_size 0
		.amdhsa_wavefront_size32 1
		.amdhsa_uses_dynamic_stack 0
		.amdhsa_enable_private_segment 0
		.amdhsa_system_sgpr_workgroup_id_x 1
		.amdhsa_system_sgpr_workgroup_id_y 0
		.amdhsa_system_sgpr_workgroup_id_z 0
		.amdhsa_system_sgpr_workgroup_info 0
		.amdhsa_system_vgpr_workitem_id 0
		.amdhsa_next_free_vgpr 206
		.amdhsa_next_free_sgpr 16
		.amdhsa_reserve_vcc 1
		.amdhsa_float_round_mode_32 0
		.amdhsa_float_round_mode_16_64 0
		.amdhsa_float_denorm_mode_32 3
		.amdhsa_float_denorm_mode_16_64 3
		.amdhsa_fp16_overflow 0
		.amdhsa_workgroup_processor_mode 1
		.amdhsa_memory_ordered 1
		.amdhsa_forward_progress 0
		.amdhsa_round_robin_scheduling 0
		.amdhsa_exception_fp_ieee_invalid_op 0
		.amdhsa_exception_fp_denorm_src 0
		.amdhsa_exception_fp_ieee_div_zero 0
		.amdhsa_exception_fp_ieee_overflow 0
		.amdhsa_exception_fp_ieee_underflow 0
		.amdhsa_exception_fp_ieee_inexact 0
		.amdhsa_exception_int_div_zero 0
	.end_amdhsa_kernel
	.text
.Lfunc_end0:
	.size	bluestein_single_back_len10240_dim1_half_op_CI_CI, .Lfunc_end0-bluestein_single_back_len10240_dim1_half_op_CI_CI
                                        ; -- End function
	.section	.AMDGPU.csdata,"",@progbits
; Kernel info:
; codeLenInByte = 40784
; NumSgprs: 18
; NumVgprs: 206
; ScratchSize: 0
; MemoryBound: 0
; FloatMode: 240
; IeeeMode: 1
; LDSByteSize: 40960 bytes/workgroup (compile time only)
; SGPRBlocks: 2
; VGPRBlocks: 25
; NumSGPRsForWavesPerEU: 18
; NumVGPRsForWavesPerEU: 206
; Occupancy: 7
; WaveLimiterHint : 1
; COMPUTE_PGM_RSRC2:SCRATCH_EN: 0
; COMPUTE_PGM_RSRC2:USER_SGPR: 2
; COMPUTE_PGM_RSRC2:TRAP_HANDLER: 0
; COMPUTE_PGM_RSRC2:TGID_X_EN: 1
; COMPUTE_PGM_RSRC2:TGID_Y_EN: 0
; COMPUTE_PGM_RSRC2:TGID_Z_EN: 0
; COMPUTE_PGM_RSRC2:TIDIG_COMP_CNT: 0
	.text
	.p2alignl 7, 3214868480
	.fill 96, 4, 3214868480
	.type	__hip_cuid_92ea28e57643c5ab,@object ; @__hip_cuid_92ea28e57643c5ab
	.section	.bss,"aw",@nobits
	.globl	__hip_cuid_92ea28e57643c5ab
__hip_cuid_92ea28e57643c5ab:
	.byte	0                               ; 0x0
	.size	__hip_cuid_92ea28e57643c5ab, 1

	.ident	"AMD clang version 19.0.0git (https://github.com/RadeonOpenCompute/llvm-project roc-6.4.0 25133 c7fe45cf4b819c5991fe208aaa96edf142730f1d)"
	.section	".note.GNU-stack","",@progbits
	.addrsig
	.addrsig_sym __hip_cuid_92ea28e57643c5ab
	.amdgpu_metadata
---
amdhsa.kernels:
  - .args:
      - .actual_access:  read_only
        .address_space:  global
        .offset:         0
        .size:           8
        .value_kind:     global_buffer
      - .actual_access:  read_only
        .address_space:  global
        .offset:         8
        .size:           8
        .value_kind:     global_buffer
      - .actual_access:  read_only
        .address_space:  global
        .offset:         16
        .size:           8
        .value_kind:     global_buffer
      - .actual_access:  read_only
        .address_space:  global
        .offset:         24
        .size:           8
        .value_kind:     global_buffer
      - .actual_access:  read_only
        .address_space:  global
        .offset:         32
        .size:           8
        .value_kind:     global_buffer
      - .offset:         40
        .size:           8
        .value_kind:     by_value
      - .address_space:  global
        .offset:         48
        .size:           8
        .value_kind:     global_buffer
      - .address_space:  global
        .offset:         56
        .size:           8
        .value_kind:     global_buffer
      - .address_space:  global
        .offset:         64
        .size:           8
        .value_kind:     global_buffer
      - .address_space:  global
        .offset:         72
        .size:           8
        .value_kind:     global_buffer
      - .offset:         80
        .size:           4
        .value_kind:     by_value
      - .address_space:  global
        .offset:         88
        .size:           8
        .value_kind:     global_buffer
      - .address_space:  global
        .offset:         96
        .size:           8
        .value_kind:     global_buffer
    .group_segment_fixed_size: 40960
    .kernarg_segment_align: 8
    .kernarg_segment_size: 104
    .language:       OpenCL C
    .language_version:
      - 2
      - 0
    .max_flat_workgroup_size: 512
    .name:           bluestein_single_back_len10240_dim1_half_op_CI_CI
    .private_segment_fixed_size: 0
    .sgpr_count:     18
    .sgpr_spill_count: 0
    .symbol:         bluestein_single_back_len10240_dim1_half_op_CI_CI.kd
    .uniform_work_group_size: 1
    .uses_dynamic_stack: false
    .vgpr_count:     206
    .vgpr_spill_count: 0
    .wavefront_size: 32
    .workgroup_processor_mode: 1
amdhsa.target:   amdgcn-amd-amdhsa--gfx1201
amdhsa.version:
  - 1
  - 2
...

	.end_amdgpu_metadata
